;; amdgpu-corpus repo=ROCm/rocFFT kind=compiled arch=gfx950 opt=O3
	.text
	.amdgcn_target "amdgcn-amd-amdhsa--gfx950"
	.amdhsa_code_object_version 6
	.protected	bluestein_single_fwd_len1232_dim1_dp_op_CI_CI ; -- Begin function bluestein_single_fwd_len1232_dim1_dp_op_CI_CI
	.globl	bluestein_single_fwd_len1232_dim1_dp_op_CI_CI
	.p2align	8
	.type	bluestein_single_fwd_len1232_dim1_dp_op_CI_CI,@function
bluestein_single_fwd_len1232_dim1_dp_op_CI_CI: ; @bluestein_single_fwd_len1232_dim1_dp_op_CI_CI
; %bb.0:
	s_load_dwordx4 s[8:11], s[0:1], 0x28
	v_mul_u32_u24_e32 v1, 0x175, v0
	v_mov_b32_e32 v147, 0
	v_add_u32_sdwa v6, s2, v1 dst_sel:DWORD dst_unused:UNUSED_PAD src0_sel:DWORD src1_sel:WORD_1
	v_mov_b32_e32 v7, v147
	s_waitcnt lgkmcnt(0)
	v_cmp_gt_u64_e32 vcc, s[8:9], v[6:7]
	s_and_saveexec_b64 s[2:3], vcc
	s_cbranch_execz .LBB0_47
; %bb.1:
	s_load_dwordx4 s[4:7], s[0:1], 0x18
	s_load_dwordx2 s[14:15], s[0:1], 0x0
	v_mov_b32_e32 v2, s10
	v_mov_b32_e32 v3, s11
	s_movk_i32 s2, 0xb0
	s_waitcnt lgkmcnt(0)
	s_load_dwordx4 s[8:11], s[4:5], 0x0
	v_mul_lo_u16_sdwa v1, v1, s2 dst_sel:DWORD dst_unused:UNUSED_PAD src0_sel:WORD_1 src1_sel:DWORD
	v_sub_u16_e32 v146, v0, v1
	v_accvgpr_write_b32 a18, v6
	v_lshlrev_b32_e32 v144, 4, v146
	s_waitcnt lgkmcnt(0)
	v_mad_u64_u32 v[0:1], s[2:3], s10, v6, 0
	v_mov_b32_e32 v4, v1
	v_mad_u64_u32 v[4:5], s[2:3], s11, v6, v[4:5]
	v_mov_b32_e32 v1, v4
	v_mad_u64_u32 v[4:5], s[2:3], s8, v146, 0
	v_mov_b32_e32 v6, v5
	v_mad_u64_u32 v[6:7], s[2:3], s9, v146, v[6:7]
	s_mul_i32 s2, s9, 0x268
	s_mul_hi_u32 s3, s8, 0x268
	v_mov_b32_e32 v5, v6
	v_lshl_add_u64 v[0:1], v[0:1], 4, v[2:3]
	v_mov_b32_e32 v145, v147
	s_add_i32 s3, s3, s2
	s_mul_i32 s2, s8, 0x268
	v_lshl_add_u64 v[0:1], v[4:5], 4, v[0:1]
	v_lshl_add_u64 v[14:15], s[14:15], 0, v[144:145]
	s_lshl_b64 s[4:5], s[2:3], 4
	s_movk_i32 s10, 0x2000
	global_load_dwordx4 v[20:23], v144, s[14:15]
	v_lshl_add_u64 v[10:11], v[0:1], 0, s[4:5]
	global_load_dwordx4 v[2:5], v[0:1], off
	global_load_dwordx4 v[6:9], v[10:11], off
	v_add_co_u32_e32 v0, vcc, s10, v14
	s_mul_hi_u32 s10, s8, 0xfffffe48
	s_mulk_i32 s9, 0xfe48
	s_sub_i32 s10, s10, s8
	s_add_i32 s17, s10, s9
	s_mul_i32 s16, s8, 0xfffffe48
	v_addc_co_u32_e32 v1, vcc, 0, v15, vcc
	s_lshl_b64 s[8:9], s[16:17], 4
	global_load_dwordx4 v[16:19], v[0:1], off offset:1664
	v_lshl_add_u64 v[0:1], v[10:11], 0, s[8:9]
	s_movk_i32 s10, 0x3000
	v_lshl_add_u64 v[10:11], v[0:1], 0, s[4:5]
	v_add_co_u32_e32 v12, vcc, s10, v14
	global_load_dwordx4 v[44:47], v144, s[14:15] offset:2816
	global_load_dwordx4 v[24:27], v[0:1], off
	global_load_dwordx4 v[28:31], v[10:11], off
	v_addc_co_u32_e32 v13, vcc, 0, v15, vcc
	v_lshl_add_u64 v[0:1], v[10:11], 0, s[8:9]
	s_movk_i32 s8, 0x1000
	global_load_dwordx4 v[48:51], v[12:13], off offset:384
	v_add_co_u32_e32 v10, vcc, s8, v14
	global_load_dwordx4 v[32:35], v[0:1], off
	s_nop 0
	v_addc_co_u32_e32 v11, vcc, 0, v15, vcc
	global_load_dwordx4 v[52:55], v[10:11], off offset:1536
	v_lshl_add_u64 v[0:1], v[0:1], 0, s[4:5]
	global_load_dwordx4 v[56:59], v[12:13], off offset:3200
	global_load_dwordx4 v[36:39], v[0:1], off
	s_load_dwordx2 s[12:13], s[0:1], 0x38
	s_load_dwordx4 s[8:11], s[6:7], 0x0
	v_accvgpr_write_b32 a0, v14
	s_movk_i32 s4, 0x58
	v_accvgpr_write_b32 a1, v15
	v_cmp_gt_u16_e64 s[4:5], s4, v146
	s_waitcnt vmcnt(11)
	v_accvgpr_write_b32 a6, v20
	s_waitcnt vmcnt(10)
	v_mul_f64 v[40:41], v[4:5], v[22:23]
	v_mul_f64 v[10:11], v[2:3], v[22:23]
	v_fmac_f64_e32 v[40:41], v[2:3], v[20:21]
	v_fma_f64 v[42:43], v[4:5], v[20:21], -v[10:11]
	v_accvgpr_write_b32 a7, v21
	v_accvgpr_write_b32 a8, v22
	;; [unrolled: 1-line block ×3, first 2 shown]
	ds_write_b128 v144, v[40:43]
	s_waitcnt vmcnt(8)
	v_mul_f64 v[2:3], v[8:9], v[18:19]
	v_mul_f64 v[4:5], v[6:7], v[18:19]
	v_fmac_f64_e32 v[2:3], v[6:7], v[16:17]
	v_fma_f64 v[4:5], v[8:9], v[16:17], -v[4:5]
	ds_write_b128 v144, v[2:5] offset:9856
	v_accvgpr_write_b32 a2, v16
	s_waitcnt vmcnt(6)
	v_mul_f64 v[6:7], v[26:27], v[46:47]
	v_mul_f64 v[8:9], v[24:25], v[46:47]
	v_fmac_f64_e32 v[6:7], v[24:25], v[44:45]
	v_fma_f64 v[8:9], v[26:27], v[44:45], -v[8:9]
	v_accvgpr_write_b32 a10, v44
	ds_write_b128 v144, v[6:9] offset:2816
	s_waitcnt vmcnt(4)
	v_mul_f64 v[2:3], v[30:31], v[50:51]
	v_mul_f64 v[4:5], v[28:29], v[50:51]
	v_fmac_f64_e32 v[2:3], v[28:29], v[48:49]
	v_fma_f64 v[4:5], v[30:31], v[48:49], -v[4:5]
	v_accvgpr_write_b32 a14, v48
	ds_write_b128 v144, v[2:5] offset:12672
	s_waitcnt vmcnt(2)
	v_mul_f64 v[6:7], v[34:35], v[54:55]
	v_mul_f64 v[8:9], v[32:33], v[54:55]
	v_accvgpr_write_b32 a20, v52
	s_waitcnt vmcnt(0)
	v_mul_f64 v[2:3], v[38:39], v[58:59]
	v_mul_f64 v[4:5], v[36:37], v[58:59]
	v_accvgpr_write_b32 a24, v56
	v_accvgpr_write_b32 a3, v17
	;; [unrolled: 1-line block ×10, first 2 shown]
	v_fmac_f64_e32 v[6:7], v[32:33], v[52:53]
	v_accvgpr_write_b32 a21, v53
	v_accvgpr_write_b32 a22, v54
	;; [unrolled: 1-line block ×3, first 2 shown]
	v_fma_f64 v[8:9], v[34:35], v[52:53], -v[8:9]
	v_fmac_f64_e32 v[2:3], v[36:37], v[56:57]
	v_accvgpr_write_b32 a25, v57
	v_accvgpr_write_b32 a26, v58
	;; [unrolled: 1-line block ×3, first 2 shown]
	v_fma_f64 v[4:5], v[38:39], v[56:57], -v[4:5]
	ds_write_b128 v144, v[6:9] offset:5632
	ds_write_b128 v144, v[2:5] offset:15488
	s_and_saveexec_b64 s[6:7], s[4:5]
	s_cbranch_execz .LBB0_3
; %bb.2:
	v_accvgpr_read_b32 v13, a1
	v_accvgpr_read_b32 v12, a0
	v_lshl_add_u64 v[8:9], s[16:17], 4, v[0:1]
	v_add_co_u32_e32 v4, vcc, 0x2000, v12
	global_load_dwordx4 v[0:3], v[8:9], off
	s_nop 0
	v_addc_co_u32_e32 v5, vcc, 0, v13, vcc
	v_lshl_add_u64 v[8:9], s[2:3], 4, v[8:9]
	s_movk_i32 s2, 0x4000
	v_add_co_u32_e32 v12, vcc, s2, v12
	global_load_dwordx4 v[4:7], v[4:5], off offset:256
	s_nop 0
	v_addc_co_u32_e32 v13, vcc, 0, v13, vcc
	global_load_dwordx4 v[8:11], v[8:9], off
	s_waitcnt vmcnt(1)
	v_mul_f64 v[28:29], v[2:3], v[6:7]
	global_load_dwordx4 v[24:27], v[12:13], off offset:1920
	v_mul_f64 v[12:13], v[0:1], v[6:7]
	v_fmac_f64_e32 v[28:29], v[0:1], v[4:5]
	v_fma_f64 v[30:31], v[2:3], v[4:5], -v[12:13]
	s_waitcnt vmcnt(0)
	v_mul_f64 v[6:7], v[10:11], v[26:27]
	v_mul_f64 v[14:15], v[8:9], v[26:27]
	v_fmac_f64_e32 v[6:7], v[8:9], v[24:25]
	v_fma_f64 v[8:9], v[10:11], v[24:25], -v[14:15]
	ds_write_b128 v144, v[28:31] offset:8448
	ds_write_b128 v144, v[6:9] offset:18304
.LBB0_3:
	s_or_b64 exec, exec, s[6:7]
	s_waitcnt lgkmcnt(0)
	s_barrier
	ds_read_b128 v[44:47], v144
	ds_read_b128 v[36:39], v144 offset:2816
	ds_read_b128 v[52:55], v144 offset:9856
	;; [unrolled: 1-line block ×5, first 2 shown]
                                        ; implicit-def: $vgpr24_vgpr25
                                        ; implicit-def: $vgpr40_vgpr41
	s_and_saveexec_b64 s[2:3], s[4:5]
	s_cbranch_execz .LBB0_5
; %bb.4:
	ds_read_b128 v[24:27], v144 offset:8448
	ds_read_b128 v[40:43], v144 offset:18304
.LBB0_5:
	s_or_b64 exec, exec, s[2:3]
	v_lshlrev_b32_e32 v0, 1, v146
	s_waitcnt lgkmcnt(3)
	v_add_f64 v[2:3], v[44:45], -v[52:53]
	v_add_f64 v[4:5], v[46:47], -v[54:55]
	s_load_dwordx2 s[0:1], s[0:1], 0x8
	v_fma_f64 v[6:7], v[44:45], 2.0, -v[2:3]
	v_fma_f64 v[8:9], v[46:47], 2.0, -v[4:5]
	v_lshlrev_b32_e32 v151, 5, v146
	v_add_u32_e32 v1, 0x160, v0
	s_waitcnt lgkmcnt(0)
	v_add_f64 v[44:45], v[36:37], -v[48:49]
	v_add_f64 v[46:47], v[38:39], -v[50:51]
	s_barrier
	ds_write_b128 v151, v[6:9]
	ds_write_b128 v151, v[2:5] offset:16
	v_lshlrev_b32_e32 v2, 4, v1
	s_mov_b64 s[2:3], 0x210
	v_accvgpr_write_b32 a33, v2
	ds_write_b128 v2, v[44:47] offset:16
	v_add_u32_e32 v2, 0x2c0, v0
	v_lshl_add_u64 v[60:61], v[146:147], 0, s[2:3]
	v_add_f64 v[48:49], v[28:29], -v[32:33]
	v_add_f64 v[50:51], v[30:31], -v[34:35]
	;; [unrolled: 1-line block ×4, first 2 shown]
	v_lshlrev_b32_e32 v4, 4, v2
	v_fma_f64 v[36:37], v[36:37], 2.0, -v[44:45]
	v_fma_f64 v[38:39], v[38:39], 2.0, -v[46:47]
	;; [unrolled: 1-line block ×6, first 2 shown]
	v_lshlrev_b32_e32 v3, 4, v0
	v_accvgpr_write_b32 a34, v4
	v_lshlrev_b32_e32 v150, 5, v60
	ds_write_b128 v3, v[36:39] offset:5632
	ds_write_b128 v3, v[52:55] offset:11264
	;; [unrolled: 1-line block ×3, first 2 shown]
	s_and_saveexec_b64 s[2:3], s[4:5]
	s_cbranch_execz .LBB0_7
; %bb.6:
	ds_write_b128 v150, v[28:31]
	ds_write_b128 v150, v[32:35] offset:16
.LBB0_7:
	s_or_b64 exec, exec, s[2:3]
	s_waitcnt lgkmcnt(0)
	s_barrier
	ds_read_b128 v[40:43], v144
	ds_read_b128 v[44:47], v144 offset:2816
	ds_read_b128 v[36:39], v144 offset:9856
	;; [unrolled: 1-line block ×5, first 2 shown]
	s_and_saveexec_b64 s[2:3], s[4:5]
	s_cbranch_execz .LBB0_9
; %bb.8:
	ds_read_b128 v[28:31], v144 offset:8448
	ds_read_b128 v[32:35], v144 offset:18304
.LBB0_9:
	s_or_b64 exec, exec, s[2:3]
	v_and_b32_e32 v148, 1, v146
	v_lshlrev_b32_e32 v3, 4, v148
	global_load_dwordx4 v[24:27], v3, s[0:1]
	s_movk_i32 s2, 0x1fc
	s_movk_i32 s3, 0x3fc
	;; [unrolled: 1-line block ×3, first 2 shown]
	v_and_or_b32 v3, v0, s2, v148
	v_and_or_b32 v4, v1, s3, v148
	;; [unrolled: 1-line block ×3, first 2 shown]
	v_lshlrev_b32_e32 v17, 4, v3
	v_lshlrev_b32_e32 v16, 4, v4
	;; [unrolled: 1-line block ×3, first 2 shown]
	v_accvgpr_write_b32 a37, v17
	v_accvgpr_write_b32 a36, v16
	;; [unrolled: 1-line block ×3, first 2 shown]
	v_lshlrev_b32_e32 v147, 1, v60
	s_waitcnt lgkmcnt(0)
	s_barrier
	s_waitcnt vmcnt(0)
	v_mul_f64 v[4:5], v[38:39], v[26:27]
	v_mul_f64 v[6:7], v[36:37], v[26:27]
	;; [unrolled: 1-line block ×8, first 2 shown]
	v_fma_f64 v[4:5], v[36:37], v[24:25], -v[4:5]
	v_fmac_f64_e32 v[6:7], v[38:39], v[24:25]
	v_fma_f64 v[32:33], v[32:33], v[24:25], -v[62:63]
	v_fmac_f64_e32 v[64:65], v[34:35], v[24:25]
	v_fma_f64 v[8:9], v[56:57], v[24:25], -v[8:9]
	v_fmac_f64_e32 v[10:11], v[58:59], v[24:25]
	v_fma_f64 v[12:13], v[52:53], v[24:25], -v[12:13]
	v_fmac_f64_e32 v[14:15], v[54:55], v[24:25]
	v_add_f64 v[4:5], v[40:41], -v[4:5]
	v_add_f64 v[6:7], v[42:43], -v[6:7]
	;; [unrolled: 1-line block ×8, first 2 shown]
	v_fma_f64 v[40:41], v[40:41], 2.0, -v[4:5]
	v_fma_f64 v[42:43], v[42:43], 2.0, -v[6:7]
	;; [unrolled: 1-line block ×8, first 2 shown]
	ds_write_b128 v17, v[4:7] offset:32
	ds_write_b128 v17, v[40:43]
	ds_write_b128 v16, v[44:47]
	ds_write_b128 v16, v[8:11] offset:32
	ds_write_b128 v3, v[48:51]
	ds_write_b128 v3, v[52:55] offset:32
	s_and_saveexec_b64 s[2:3], s[4:5]
	s_cbranch_execz .LBB0_11
; %bb.10:
	s_movk_i32 s6, 0x5fc
	v_and_or_b32 v3, v147, s6, v148
	v_lshlrev_b32_e32 v3, 4, v3
	ds_write_b128 v3, v[32:35]
	ds_write_b128 v3, v[36:39] offset:32
.LBB0_11:
	s_or_b64 exec, exec, s[2:3]
	s_waitcnt lgkmcnt(0)
	s_barrier
	ds_read_b128 v[44:47], v144
	ds_read_b128 v[48:51], v144 offset:2816
	ds_read_b128 v[40:43], v144 offset:9856
	;; [unrolled: 1-line block ×5, first 2 shown]
	s_and_saveexec_b64 s[2:3], s[4:5]
	s_cbranch_execz .LBB0_13
; %bb.12:
	ds_read_b128 v[32:35], v144 offset:8448
	ds_read_b128 v[36:39], v144 offset:18304
.LBB0_13:
	s_or_b64 exec, exec, s[2:3]
	v_and_b32_e32 v149, 3, v146
	v_lshlrev_b32_e32 v3, 4, v149
	global_load_dwordx4 v[28:31], v3, s[0:1] offset:32
	s_movk_i32 s2, 0x1f8
	s_movk_i32 s3, 0x3f8
	s_movk_i32 s6, 0x7f8
	v_and_or_b32 v3, v0, s2, v149
	v_and_or_b32 v4, v1, s3, v149
	;; [unrolled: 1-line block ×3, first 2 shown]
	v_lshlrev_b32_e32 v17, 4, v3
	v_lshlrev_b32_e32 v16, 4, v4
	;; [unrolled: 1-line block ×3, first 2 shown]
	v_accvgpr_write_b32 a44, v17
	v_accvgpr_write_b32 a39, v16
	;; [unrolled: 1-line block ×3, first 2 shown]
	s_waitcnt lgkmcnt(0)
	s_barrier
	s_waitcnt vmcnt(0)
	v_mul_f64 v[4:5], v[42:43], v[30:31]
	v_mul_f64 v[6:7], v[40:41], v[30:31]
	;; [unrolled: 1-line block ×8, first 2 shown]
	v_fma_f64 v[4:5], v[40:41], v[28:29], -v[4:5]
	v_fmac_f64_e32 v[6:7], v[42:43], v[28:29]
	v_fma_f64 v[40:41], v[36:37], v[28:29], -v[64:65]
	v_fmac_f64_e32 v[66:67], v[38:39], v[28:29]
	;; [unrolled: 2-line block ×4, first 2 shown]
	v_add_f64 v[4:5], v[44:45], -v[4:5]
	v_add_f64 v[6:7], v[46:47], -v[6:7]
	;; [unrolled: 1-line block ×8, first 2 shown]
	v_fma_f64 v[44:45], v[44:45], 2.0, -v[4:5]
	v_fma_f64 v[46:47], v[46:47], 2.0, -v[6:7]
	;; [unrolled: 1-line block ×8, first 2 shown]
	ds_write_b128 v17, v[4:7] offset:64
	ds_write_b128 v17, v[44:47]
	ds_write_b128 v16, v[48:51]
	ds_write_b128 v16, v[8:11] offset:64
	ds_write_b128 v3, v[52:55]
	ds_write_b128 v3, v[36:39] offset:64
	s_and_saveexec_b64 s[2:3], s[4:5]
	s_cbranch_execz .LBB0_15
; %bb.14:
	s_movk_i32 s6, 0x5f8
	v_and_or_b32 v3, v147, s6, v149
	v_lshlrev_b32_e32 v3, 4, v3
	ds_write_b128 v3, v[32:35]
	ds_write_b128 v3, v[40:43] offset:64
.LBB0_15:
	s_or_b64 exec, exec, s[2:3]
	s_waitcnt lgkmcnt(0)
	s_barrier
	ds_read_b128 v[44:47], v144
	ds_read_b128 v[48:51], v144 offset:2816
	ds_read_b128 v[56:59], v144 offset:9856
	ds_read_b128 v[52:55], v144 offset:5632
	ds_read_b128 v[64:67], v144 offset:12672
	ds_read_b128 v[60:63], v144 offset:15488
	s_and_saveexec_b64 s[2:3], s[4:5]
	s_cbranch_execz .LBB0_17
; %bb.16:
	ds_read_b128 v[32:35], v144 offset:8448
	ds_read_b128 v[40:43], v144 offset:18304
.LBB0_17:
	s_or_b64 exec, exec, s[2:3]
	v_and_b32_e32 v145, 7, v146
	v_lshlrev_b32_e32 v3, 4, v145
	global_load_dwordx4 v[36:39], v3, s[0:1] offset:96
	s_movk_i32 s2, 0x1f0
	s_movk_i32 s3, 0x3f0
	;; [unrolled: 1-line block ×3, first 2 shown]
	v_and_or_b32 v0, v0, s2, v145
	v_and_or_b32 v1, v1, s3, v145
	;; [unrolled: 1-line block ×3, first 2 shown]
	v_lshlrev_b32_e32 v16, 4, v0
	v_lshlrev_b32_e32 v15, 4, v1
	;; [unrolled: 1-line block ×3, first 2 shown]
	v_accvgpr_write_b32 a55, v16
	v_accvgpr_write_b32 a54, v15
	;; [unrolled: 1-line block ×3, first 2 shown]
	s_waitcnt lgkmcnt(0)
	s_barrier
	s_waitcnt vmcnt(0)
	v_mul_f64 v[0:1], v[58:59], v[38:39]
	v_mul_f64 v[2:3], v[56:57], v[38:39]
	;; [unrolled: 1-line block ×8, first 2 shown]
	v_fma_f64 v[0:1], v[56:57], v[36:37], -v[0:1]
	v_fmac_f64_e32 v[2:3], v[58:59], v[36:37]
	v_fma_f64 v[4:5], v[64:65], v[36:37], -v[4:5]
	v_fmac_f64_e32 v[6:7], v[66:67], v[36:37]
	v_fma_f64 v[8:9], v[60:61], v[36:37], -v[8:9]
	v_fmac_f64_e32 v[10:11], v[62:63], v[36:37]
	v_fma_f64 v[12:13], v[40:41], v[36:37], -v[12:13]
	v_fmac_f64_e32 v[68:69], v[42:43], v[36:37]
	v_add_f64 v[80:81], v[44:45], -v[0:1]
	v_add_f64 v[82:83], v[46:47], -v[2:3]
	;; [unrolled: 1-line block ×8, first 2 shown]
	v_fma_f64 v[76:77], v[44:45], 2.0, -v[80:81]
	v_fma_f64 v[78:79], v[46:47], 2.0, -v[82:83]
	;; [unrolled: 1-line block ×8, first 2 shown]
	ds_write_b128 v16, v[80:83] offset:128
	ds_write_b128 v16, v[76:79]
	ds_write_b128 v15, v[84:87]
	ds_write_b128 v15, v[88:91] offset:128
	ds_write_b128 v14, v[92:95]
	ds_write_b128 v14, v[96:99] offset:128
	s_and_saveexec_b64 s[2:3], s[4:5]
	s_cbranch_execz .LBB0_19
; %bb.18:
	s_movk_i32 s6, 0x5f0
	v_and_or_b32 v0, v147, s6, v145
	v_lshlrev_b32_e32 v0, 4, v0
	ds_write_b128 v0, v[100:103]
	ds_write_b128 v0, v[104:107] offset:128
.LBB0_19:
	s_or_b64 exec, exec, s[2:3]
	s_movk_i32 s2, 0x70
	v_cmp_gt_u16_e64 s[2:3], s2, v146
	s_waitcnt lgkmcnt(0)
	s_barrier
	s_waitcnt lgkmcnt(0)
                                        ; implicit-def: $vgpr108_vgpr109
                                        ; implicit-def: $vgpr112_vgpr113
                                        ; implicit-def: $vgpr116_vgpr117
	s_and_saveexec_b64 s[6:7], s[2:3]
	s_cbranch_execz .LBB0_21
; %bb.20:
	ds_read_b128 v[76:79], v144
	ds_read_b128 v[80:83], v144 offset:1792
	ds_read_b128 v[84:87], v144 offset:3584
	;; [unrolled: 1-line block ×10, first 2 shown]
.LBB0_21:
	s_or_b64 exec, exec, s[6:7]
	v_and_b32_e32 v2, 15, v146
	s_movk_i32 s6, 0xa0
	v_mov_b64_e32 v[0:1], s[0:1]
	v_mad_u64_u32 v[0:1], s[6:7], v2, s6, v[0:1]
	global_load_dwordx4 v[14:17], v[0:1], off offset:224
	global_load_dwordx4 v[18:21], v[0:1], off offset:240
	;; [unrolled: 1-line block ×10, first 2 shown]
	s_mov_b32 s22, 0xf8bb580b
	v_accvgpr_write_b32 a28, v2
	s_mov_b32 s6, 0x8764f0ba
	s_mov_b32 s23, 0xbfe14ced
	;; [unrolled: 1-line block ×27, first 2 shown]
	s_waitcnt lgkmcnt(0)
	s_barrier
	s_waitcnt vmcnt(9)
	v_mul_f64 v[120:121], v[80:81], v[16:17]
	v_mul_f64 v[0:1], v[82:83], v[16:17]
	s_waitcnt vmcnt(8)
	v_mul_f64 v[122:123], v[84:85], v[20:21]
	v_fmac_f64_e32 v[120:121], v[82:83], v[14:15]
	s_waitcnt vmcnt(5)
	v_mul_f64 v[128:129], v[96:97], v[74:75]
	v_mul_f64 v[2:3], v[86:87], v[20:21]
	;; [unrolled: 1-line block ×4, first 2 shown]
	s_waitcnt vmcnt(1)
	v_mul_f64 v[136:137], v[112:113], v[62:63]
	s_waitcnt vmcnt(0)
	v_mul_f64 v[138:139], v[116:117], v[54:55]
	v_mul_f64 v[152:153], v[118:119], v[54:55]
	v_fmac_f64_e32 v[138:139], v[118:119], v[52:53]
	v_mul_f64 v[8:9], v[98:99], v[74:75]
	v_mul_f64 v[134:135], v[108:109], v[58:59]
	;; [unrolled: 1-line block ×3, first 2 shown]
	v_fma_f64 v[80:81], v[80:81], v[14:15], -v[0:1]
	v_fmac_f64_e32 v[122:123], v[86:87], v[18:19]
	v_fmac_f64_e32 v[128:129], v[98:99], v[72:73]
	;; [unrolled: 1-line block ×3, first 2 shown]
	v_fma_f64 v[98:99], v[116:117], v[52:53], -v[152:153]
	v_add_f64 v[168:169], v[120:121], -v[138:139]
	v_mul_f64 v[126:127], v[92:93], v[42:43]
	v_mul_f64 v[140:141], v[110:111], v[58:59]
	v_fma_f64 v[82:83], v[84:85], v[18:19], -v[2:3]
	v_fma_f64 v[84:85], v[88:89], v[32:33], -v[4:5]
	v_fmac_f64_e32 v[124:125], v[90:91], v[32:33]
	v_fma_f64 v[88:89], v[96:97], v[72:73], -v[8:9]
	v_fmac_f64_e32 v[134:135], v[110:111], v[56:57]
	v_fma_f64 v[96:97], v[112:113], v[60:61], -v[142:143]
	v_add_f64 v[156:157], v[80:81], v[98:99]
	v_add_f64 v[160:161], v[80:81], -v[98:99]
	v_add_f64 v[182:183], v[122:123], -v[136:137]
	v_mul_f64 v[118:119], v[168:169], s[22:23]
	v_mul_f64 v[6:7], v[94:95], v[42:43]
	;; [unrolled: 1-line block ×3, first 2 shown]
	v_fmac_f64_e32 v[126:127], v[94:95], v[40:41]
	v_fma_f64 v[94:95], v[108:109], v[56:57], -v[140:141]
	v_add_f64 v[174:175], v[120:121], v[138:139]
	v_add_f64 v[164:165], v[82:83], v[96:97]
	v_add_f64 v[170:171], v[82:83], -v[96:97]
	v_add_f64 v[206:207], v[124:125], -v[134:135]
	v_mul_f64 v[142:143], v[160:161], s[22:23]
	v_mul_f64 v[140:141], v[182:183], s[24:25]
	v_fma_f64 v[0:1], s[6:7], v[156:157], v[118:119]
	v_mul_f64 v[12:13], v[106:107], v[66:67]
	v_fmac_f64_e32 v[132:133], v[106:107], v[64:65]
	v_add_f64 v[188:189], v[122:123], v[136:137]
	v_add_f64 v[176:177], v[84:85], v[94:95]
	v_mul_f64 v[154:155], v[170:171], s[24:25]
	v_fma_f64 v[2:3], v[174:175], s[6:7], -v[142:143]
	v_fma_f64 v[4:5], s[16:17], v[164:165], v[140:141]
	v_add_f64 v[0:1], v[76:77], v[0:1]
	v_mul_f64 v[152:153], v[206:207], s[20:21]
	v_add_f64 v[198:199], v[84:85], -v[94:95]
	v_mul_f64 v[130:131], v[100:101], v[70:71]
	v_fma_f64 v[86:87], v[92:93], v[40:41], -v[6:7]
	v_fma_f64 v[92:93], v[104:105], v[64:65], -v[12:13]
	;; [unrolled: 1-line block ×3, first 2 shown]
	v_add_f64 v[2:3], v[78:79], v[2:3]
	v_add_f64 v[0:1], v[4:5], v[0:1]
	v_fma_f64 v[4:5], s[18:19], v[176:177], v[152:153]
	v_add_f64 v[226:227], v[124:125], v[134:135]
	v_mul_f64 v[158:159], v[198:199], s[20:21]
	v_add_f64 v[236:237], v[126:127], -v[132:133]
	v_mul_f64 v[10:11], v[102:103], v[70:71]
	v_fmac_f64_e32 v[130:131], v[102:103], v[68:69]
	v_add_f64 v[2:3], v[6:7], v[2:3]
	v_add_f64 v[0:1], v[4:5], v[0:1]
	v_fma_f64 v[4:5], v[226:227], s[18:19], -v[158:159]
	v_add_f64 v[200:201], v[86:87], v[92:93]
	v_mul_f64 v[162:163], v[236:237], s[30:31]
	v_add_f64 v[220:221], v[86:87], -v[92:93]
	v_fma_f64 v[90:91], v[100:101], v[68:69], -v[10:11]
	v_add_f64 v[2:3], v[4:5], v[2:3]
	v_fma_f64 v[4:5], s[28:29], v[200:201], v[162:163]
	v_add_f64 v[212:213], v[126:127], v[132:133]
	v_mul_f64 v[166:167], v[220:221], s[30:31]
	v_add_f64 v[250:251], v[128:129], -v[130:131]
	v_add_f64 v[0:1], v[4:5], v[0:1]
	v_fma_f64 v[4:5], v[212:213], s[28:29], -v[166:167]
	v_add_f64 v[214:215], v[88:89], v[90:91]
	v_mul_f64 v[172:173], v[250:251], s[36:37]
	v_add_f64 v[242:243], v[88:89], -v[90:91]
	v_add_f64 v[2:3], v[4:5], v[2:3]
	v_fma_f64 v[4:5], s[34:35], v[214:215], v[172:173]
	v_add_f64 v[218:219], v[128:129], v[130:131]
	v_mul_f64 v[178:179], v[242:243], s[36:37]
	v_add_f64 v[4:5], v[4:5], v[0:1]
	v_fma_f64 v[0:1], v[218:219], s[34:35], -v[178:179]
	v_mul_f64 v[180:181], v[168:169], s[24:25]
	v_add_f64 v[6:7], v[0:1], v[2:3]
	v_fma_f64 v[0:1], s[16:17], v[156:157], v[180:181]
	v_mul_f64 v[184:185], v[182:183], s[30:31]
	v_add_f64 v[0:1], v[76:77], v[0:1]
	v_fma_f64 v[2:3], s[28:29], v[164:165], v[184:185]
	v_mul_f64 v[190:191], v[160:161], s[24:25]
	v_accvgpr_write_b32 a65, v7
	v_add_f64 v[0:1], v[2:3], v[0:1]
	v_fma_f64 v[2:3], v[174:175], s[16:17], -v[190:191]
	v_mul_f64 v[192:193], v[170:171], s[30:31]
	v_accvgpr_write_b32 a64, v6
	v_accvgpr_write_b32 a63, v5
	;; [unrolled: 1-line block ×3, first 2 shown]
	v_add_f64 v[2:3], v[78:79], v[2:3]
	v_fma_f64 v[4:5], v[188:189], s[28:29], -v[192:193]
	v_mul_f64 v[186:187], v[206:207], s[38:39]
	v_add_f64 v[2:3], v[4:5], v[2:3]
	v_fma_f64 v[4:5], s[34:35], v[176:177], v[186:187]
	v_mul_f64 v[196:197], v[198:199], s[38:39]
	v_add_f64 v[0:1], v[4:5], v[0:1]
	v_fma_f64 v[4:5], v[226:227], s[34:35], -v[196:197]
	v_mul_f64 v[194:195], v[236:237], s[44:45]
	v_add_f64 v[2:3], v[4:5], v[2:3]
	v_fma_f64 v[4:5], s[18:19], v[200:201], v[194:195]
	v_mul_f64 v[204:205], v[220:221], s[44:45]
	;; [unrolled: 6-line block ×4, first 2 shown]
	v_add_f64 v[0:1], v[76:77], v[0:1]
	v_fma_f64 v[2:3], s[34:35], v[164:165], v[216:217]
	v_mul_f64 v[224:225], v[160:161], s[20:21]
	v_add_f64 v[0:1], v[2:3], v[0:1]
	v_fma_f64 v[2:3], v[174:175], s[18:19], -v[224:225]
	v_mul_f64 v[228:229], v[170:171], s[38:39]
	v_add_f64 v[2:3], v[78:79], v[2:3]
	v_fma_f64 v[4:5], v[188:189], s[34:35], -v[228:229]
	v_mul_f64 v[222:223], v[206:207], s[42:43]
	v_add_f64 v[2:3], v[4:5], v[2:3]
	v_fma_f64 v[4:5], s[16:17], v[176:177], v[222:223]
	v_mul_f64 v[234:235], v[198:199], s[42:43]
	v_add_f64 v[0:1], v[4:5], v[0:1]
	v_fma_f64 v[4:5], v[226:227], s[16:17], -v[234:235]
	v_mul_f64 v[230:231], v[236:237], s[22:23]
	v_add_f64 v[2:3], v[4:5], v[2:3]
	v_fma_f64 v[4:5], s[6:7], v[200:201], v[230:231]
	;; [unrolled: 6-line block ×4, first 2 shown]
	v_mul_f64 v[246:247], v[182:183], s[44:45]
	v_add_f64 v[0:1], v[76:77], v[0:1]
	v_fma_f64 v[2:3], s[18:19], v[164:165], v[246:247]
	v_mul_f64 v[252:253], v[160:161], s[30:31]
	v_add_f64 v[2:3], v[2:3], v[0:1]
	v_fma_f64 v[0:1], v[174:175], s[28:29], -v[252:253]
	v_add_f64 v[4:5], v[78:79], v[0:1]
	v_mul_f64 v[0:1], v[170:171], s[44:45]
	v_fma_f64 v[6:7], v[188:189], s[18:19], -v[0:1]
	v_mul_f64 v[248:249], v[206:207], s[22:23]
	v_add_f64 v[6:7], v[6:7], v[4:5]
	v_fma_f64 v[4:5], s[6:7], v[176:177], v[248:249]
	v_add_f64 v[2:3], v[4:5], v[2:3]
	v_mul_f64 v[4:5], v[198:199], s[22:23]
	v_fma_f64 v[8:9], v[226:227], s[6:7], -v[4:5]
	v_mul_f64 v[254:255], v[236:237], s[36:37]
	v_add_f64 v[8:9], v[8:9], v[6:7]
	v_fma_f64 v[6:7], s[34:35], v[200:201], v[254:255]
	v_add_f64 v[10:11], v[6:7], v[2:3]
	v_mul_f64 v[6:7], v[220:221], s[36:37]
	v_fma_f64 v[2:3], v[212:213], s[34:35], -v[6:7]
	v_add_f64 v[12:13], v[2:3], v[8:9]
	v_mul_f64 v[2:3], v[250:251], s[42:43]
	v_fma_f64 v[8:9], s[16:17], v[214:215], v[2:3]
	v_add_f64 v[112:113], v[8:9], v[10:11]
	v_mul_f64 v[8:9], v[242:243], s[42:43]
	v_fma_f64 v[10:11], v[218:219], s[16:17], -v[8:9]
	v_accvgpr_write_b32 a43, v17
	v_accvgpr_write_b32 a49, v21
	;; [unrolled: 1-line block ×4, first 2 shown]
	v_add_f64 v[114:115], v[10:11], v[12:13]
	v_lshrrev_b32_e32 v10, 4, v146
	v_accvgpr_write_b32 a42, v16
	v_accvgpr_write_b32 a41, v15
	;; [unrolled: 1-line block ×13, first 2 shown]
	v_mov_b32_e32 v117, 0
	s_and_saveexec_b64 s[26:27], s[2:3]
	s_cbranch_execz .LBB0_23
; %bb.22:
	v_mul_f64 v[10:11], v[156:157], s[6:7]
	v_accvgpr_write_b32 a67, v11
	v_accvgpr_write_b32 a66, v10
	v_mul_f64 v[10:11], v[174:175], s[6:7]
	v_accvgpr_write_b32 a71, v11
	v_accvgpr_write_b32 a70, v10
	;; [unrolled: 3-line block ×10, first 2 shown]
	v_mul_f64 v[10:11], v[226:227], s[18:19]
	v_mul_f64 v[14:15], v[174:175], s[18:19]
	v_accvgpr_write_b32 a29, v148
	v_accvgpr_write_b32 a30, v149
	v_mul_f64 v[148:149], v[174:175], s[28:29]
	v_accvgpr_write_b32 a81, v11
	v_mul_f64 v[174:175], v[174:175], s[34:35]
	v_accvgpr_write_b32 a31, v150
	v_accvgpr_write_b32 a32, v151
	v_mul_f64 v[150:151], v[188:189], s[34:35]
	v_mul_f64 v[18:19], v[188:189], s[18:19]
	v_accvgpr_write_b32 a80, v10
	v_mul_f64 v[10:11], v[176:177], s[34:35]
	v_mul_f64 v[50:51], v[212:213], s[16:17]
	v_mul_f64 v[188:189], v[188:189], s[6:7]
	v_fma_f64 v[102:103], s[38:39], v[160:161], v[174:175]
	v_accvgpr_write_b32 a87, v11
	v_mul_f64 v[34:35], v[226:227], s[34:35]
	v_mul_f64 v[42:43], v[226:227], s[16:17]
	;; [unrolled: 1-line block ×3, first 2 shown]
	v_fma_f64 v[12:13], s[24:25], v[220:221], v[50:51]
	v_mul_f64 v[226:227], v[226:227], s[28:29]
	s_mov_b32 s25, 0x3fe82f19
	s_mov_b32 s24, s30
	v_fma_f64 v[100:101], s[22:23], v[170:171], v[188:189]
	v_add_f64 v[102:103], v[78:79], v[102:103]
	v_accvgpr_write_b32 a86, v10
	v_mul_f64 v[10:11], v[200:201], s[28:29]
	v_add_f64 v[100:101], v[100:101], v[102:103]
	v_fma_f64 v[102:103], s[24:25], v[198:199], v[226:227]
	v_accvgpr_write_b32 a79, v11
	v_mul_f64 v[48:49], v[218:219], s[18:19]
	v_add_f64 v[100:101], v[102:103], v[100:101]
	v_mul_f64 v[168:169], v[168:169], s[36:37]
	v_accvgpr_write_b32 a78, v10
	v_fma_f64 v[10:11], s[44:45], v[242:243], v[48:49]
	v_add_f64 v[12:13], v[12:13], v[100:101]
	v_mul_f64 v[102:103], v[236:237], s[42:43]
	v_mul_f64 v[182:183], v[182:183], s[40:41]
	v_fma_f64 v[236:237], s[34:35], v[156:157], v[168:169]
	v_add_f64 v[12:13], v[10:11], v[12:13]
	v_mul_f64 v[206:207], v[206:207], s[30:31]
	v_fma_f64 v[10:11], s[6:7], v[164:165], v[182:183]
	v_add_f64 v[236:237], v[76:77], v[236:237]
	v_add_f64 v[10:11], v[10:11], v[236:237]
	v_fma_f64 v[236:237], s[28:29], v[176:177], v[206:207]
	v_add_f64 v[0:1], v[0:1], v[18:19]
	v_add_f64 v[18:19], v[252:253], v[148:149]
	v_mul_f64 v[100:101], v[250:251], s[20:21]
	v_add_f64 v[10:11], v[236:237], v[10:11]
	v_fma_f64 v[236:237], s[16:17], v[200:201], v[102:103]
	v_fmac_f64_e32 v[174:175], s[36:37], v[160:161]
	v_add_f64 v[18:19], v[78:79], v[18:19]
	v_add_f64 v[10:11], v[236:237], v[10:11]
	v_fma_f64 v[236:237], s[18:19], v[214:215], v[100:101]
	v_fmac_f64_e32 v[188:189], s[40:41], v[170:171]
	v_mul_f64 v[22:23], v[212:213], s[34:35]
	v_add_f64 v[170:171], v[78:79], v[174:175]
	v_add_f64 v[4:5], v[4:5], v[46:47]
	;; [unrolled: 1-line block ×3, first 2 shown]
	v_mov_b32_e32 v116, v146
	v_accvgpr_write_b32 a19, v147
	v_mul_f64 v[146:147], v[156:157], s[28:29]
	v_mul_f64 v[40:41], v[176:177], s[16:17]
	;; [unrolled: 1-line block ×3, first 2 shown]
	v_add_f64 v[10:11], v[236:237], v[10:11]
	v_mul_f64 v[236:237], v[212:213], s[28:29]
	v_fmac_f64_e32 v[48:49], s[20:21], v[242:243]
	v_mul_f64 v[242:243], v[212:213], s[18:19]
	v_fmac_f64_e32 v[226:227], s[30:31], v[198:199]
	v_mul_f64 v[198:199], v[212:213], s[6:7]
	v_add_f64 v[170:171], v[188:189], v[170:171]
	v_mul_f64 v[188:189], v[218:219], s[34:35]
	v_mul_f64 v[212:213], v[218:219], s[6:7]
	v_fma_f64 v[176:177], v[176:177], s[28:29], -v[206:207]
	v_mul_f64 v[206:207], v[218:219], s[28:29]
	v_mul_f64 v[218:219], v[218:219], s[16:17]
	v_add_f64 v[6:7], v[6:7], v[22:23]
	v_add_f64 v[0:1], v[4:5], v[0:1]
	v_mul_f64 v[32:33], v[164:165], s[18:19]
	v_add_f64 v[8:9], v[8:9], v[218:219]
	v_add_f64 v[0:1], v[6:7], v[0:1]
	v_add_f64 v[18:19], v[146:147], -v[244:245]
	v_add_f64 v[4:5], v[8:9], v[0:1]
	v_add_f64 v[8:9], v[32:33], -v[246:247]
	v_add_f64 v[18:19], v[76:77], v[18:19]
	v_add_f64 v[14:15], v[224:225], v[14:15]
	;; [unrolled: 1-line block ×6, first 2 shown]
	v_accvgpr_read_b32 v18, a90
	v_accvgpr_read_b32 v19, a91
	v_mul_f64 v[16:17], v[164:165], s[34:35]
	v_mul_f64 v[250:251], v[200:201], s[18:19]
	v_fmac_f64_e32 v[50:51], s[42:43], v[220:221]
	v_mul_f64 v[220:221], v[200:201], s[6:7]
	v_mul_f64 v[20:21], v[200:201], s[34:35]
	;; [unrolled: 1-line block ×4, first 2 shown]
	v_fma_f64 v[102:103], v[200:201], s[16:17], -v[102:103]
	v_mul_f64 v[200:201], v[214:215], s[28:29]
	v_fma_f64 v[100:101], v[214:215], s[18:19], -v[100:101]
	v_mul_f64 v[214:215], v[214:215], s[16:17]
	v_add_f64 v[18:19], v[18:19], -v[210:211]
	v_add_f64 v[0:1], v[214:215], -v[2:3]
	v_add_f64 v[2:3], v[20:21], -v[254:255]
	v_add_f64 v[6:7], v[44:45], -v[248:249]
	v_add_f64 v[16:17], v[16:17], -v[216:217]
	v_add_f64 v[18:19], v[76:77], v[18:19]
	v_accvgpr_read_b32 v20, a84
	v_add_f64 v[6:7], v[6:7], v[8:9]
	v_add_f64 v[8:9], v[234:235], v[42:43]
	v_add_f64 v[16:17], v[16:17], v[18:19]
	v_accvgpr_read_b32 v18, a88
	v_accvgpr_read_b32 v21, a85
	v_add_f64 v[2:3], v[2:3], v[6:7]
	v_add_f64 v[6:7], v[238:239], v[198:199]
	;; [unrolled: 1-line block ×3, first 2 shown]
	v_accvgpr_read_b32 v19, a89
	v_add_f64 v[20:21], v[190:191], v[20:21]
	v_add_f64 v[2:3], v[0:1], v[2:3]
	;; [unrolled: 1-line block ×4, first 2 shown]
	v_add_f64 v[14:15], v[40:41], -v[222:223]
	v_add_f64 v[18:19], v[192:193], v[18:19]
	v_add_f64 v[20:21], v[78:79], v[20:21]
	;; [unrolled: 1-line block ×4, first 2 shown]
	v_add_f64 v[6:7], v[220:221], -v[230:231]
	v_add_f64 v[14:15], v[14:15], v[16:17]
	v_add_f64 v[16:17], v[196:197], v[34:35]
	;; [unrolled: 1-line block ×3, first 2 shown]
	v_accvgpr_read_b32 v20, a76
	v_add_f64 v[50:51], v[50:51], v[170:171]
	v_add_f64 v[6:7], v[6:7], v[14:15]
	;; [unrolled: 1-line block ×4, first 2 shown]
	v_accvgpr_read_b32 v18, a82
	v_accvgpr_read_b32 v21, a77
	v_add_f64 v[170:171], v[48:49], v[50:51]
	v_fma_f64 v[50:51], v[156:157], s[34:35], -v[168:169]
	v_add_f64 v[14:15], v[14:15], v[16:17]
	v_accvgpr_read_b32 v16, a86
	v_accvgpr_read_b32 v19, a83
	v_add_f64 v[20:21], v[20:21], -v[180:181]
	v_fma_f64 v[48:49], v[164:165], s[6:7], -v[182:183]
	v_add_f64 v[50:51], v[76:77], v[50:51]
	v_add_f64 v[0:1], v[200:201], -v[232:233]
	v_accvgpr_read_b32 v17, a87
	v_add_f64 v[18:19], v[18:19], -v[184:185]
	v_add_f64 v[20:21], v[76:77], v[20:21]
	v_add_f64 v[48:49], v[48:49], v[50:51]
	;; [unrolled: 1-line block ×4, first 2 shown]
	v_add_f64 v[16:17], v[16:17], -v[186:187]
	v_add_f64 v[18:19], v[18:19], v[20:21]
	v_accvgpr_read_b32 v20, a70
	v_add_f64 v[48:49], v[176:177], v[48:49]
	v_add_f64 v[176:177], v[0:1], v[14:15]
	v_add_f64 v[14:15], v[250:251], -v[194:195]
	v_add_f64 v[16:17], v[16:17], v[18:19]
	v_accvgpr_read_b32 v18, a74
	v_accvgpr_read_b32 v21, a71
	v_add_f64 v[14:15], v[14:15], v[16:17]
	v_accvgpr_read_b32 v16, a80
	v_accvgpr_read_b32 v19, a75
	v_add_f64 v[20:21], v[142:143], v[20:21]
	v_accvgpr_read_b32 v17, a81
	v_add_f64 v[18:19], v[154:155], v[18:19]
	v_add_f64 v[20:21], v[78:79], v[20:21]
	v_add_f64 v[0:1], v[174:175], -v[202:203]
	v_add_f64 v[16:17], v[158:159], v[16:17]
	v_add_f64 v[18:19], v[18:19], v[20:21]
	v_accvgpr_read_b32 v20, a66
	v_add_f64 v[174:175], v[0:1], v[14:15]
	v_add_f64 v[14:15], v[166:167], v[236:237]
	;; [unrolled: 1-line block ×3, first 2 shown]
	v_accvgpr_read_b32 v18, a68
	v_accvgpr_read_b32 v21, a67
	v_add_f64 v[0:1], v[178:179], v[188:189]
	v_add_f64 v[14:15], v[14:15], v[16:17]
	v_accvgpr_read_b32 v16, a72
	v_accvgpr_read_b32 v19, a69
	v_add_f64 v[20:21], v[20:21], -v[118:119]
	v_add_f64 v[142:143], v[0:1], v[14:15]
	v_accvgpr_read_b32 v14, a78
	v_accvgpr_read_b32 v17, a73
	v_add_f64 v[18:19], v[18:19], -v[140:141]
	v_add_f64 v[20:21], v[76:77], v[20:21]
	v_accvgpr_read_b32 v15, a79
	v_add_f64 v[16:17], v[16:17], -v[152:153]
	v_add_f64 v[18:19], v[18:19], v[20:21]
	v_add_f64 v[14:15], v[14:15], -v[162:163]
	v_add_f64 v[16:17], v[16:17], v[18:19]
	;; [unrolled: 2-line block ×3, first 2 shown]
	v_add_f64 v[140:141], v[0:1], v[14:15]
	v_add_f64 v[0:1], v[78:79], v[120:121]
	;; [unrolled: 1-line block ×21, first 2 shown]
	v_accvgpr_read_b32 v0, a60
	v_mul_u32_u24_e32 v0, 0xb0, v0
	v_accvgpr_read_b32 v1, a28
	v_or_b32_e32 v0, v0, v1
	v_add_f64 v[48:49], v[102:103], v[48:49]
	v_accvgpr_read_b32 v149, a30
	v_accvgpr_read_b32 v148, a29
	;; [unrolled: 1-line block ×3, first 2 shown]
	v_mov_b32_e32 v146, v116
	v_accvgpr_read_b32 v151, a32
	v_accvgpr_read_b32 v150, a31
	v_lshlrev_b32_e32 v0, 4, v0
	v_add_f64 v[168:169], v[100:101], v[48:49]
	ds_write_b128 v0, v[76:79]
	ds_write_b128 v0, v[140:143] offset:256
	ds_write_b128 v0, v[174:177] offset:512
	;; [unrolled: 1-line block ×10, first 2 shown]
.LBB0_23:
	s_or_b64 exec, exec, s[26:27]
	s_movk_i32 s6, 0x60
	v_mov_b64_e32 v[0:1], s[0:1]
	v_mad_u64_u32 v[0:1], s[0:1], v146, s6, v[0:1]
	s_waitcnt lgkmcnt(0)
	s_barrier
	global_load_dwordx4 v[88:91], v[0:1], off offset:2784
	global_load_dwordx4 v[84:87], v[0:1], off offset:2800
	;; [unrolled: 1-line block ×6, first 2 shown]
	ds_read_b128 v[0:3], v144
	ds_read_b128 v[4:7], v144 offset:2816
	ds_read_b128 v[8:11], v144 offset:5632
	;; [unrolled: 1-line block ×6, first 2 shown]
	v_lshlrev_b32_e32 v116, 4, v146
	s_mov_b32 s6, 0x37e14327
	v_lshl_add_u64 v[120:121], s[14:15], 0, v[116:117]
	s_mov_b32 s14, 0xaaaaaaaa
	s_mov_b32 s7, 0x3fe948f6
	;; [unrolled: 1-line block ×5, first 2 shown]
	s_waitcnt vmcnt(5) lgkmcnt(5)
	v_mul_f64 v[12:13], v[6:7], v[90:91]
	v_mul_f64 v[14:15], v[4:5], v[90:91]
	s_waitcnt vmcnt(4) lgkmcnt(4)
	v_mul_f64 v[16:17], v[10:11], v[86:87]
	v_mul_f64 v[18:19], v[8:9], v[86:87]
	s_waitcnt vmcnt(1) lgkmcnt(1)
	v_mul_f64 v[40:41], v[132:133], v[98:99]
	s_waitcnt vmcnt(0) lgkmcnt(0)
	v_mul_f64 v[44:45], v[136:137], v[94:95]
	v_mul_f64 v[20:21], v[124:125], v[82:83]
	;; [unrolled: 1-line block ×7, first 2 shown]
	v_fma_f64 v[4:5], v[4:5], v[88:89], -v[12:13]
	v_fmac_f64_e32 v[14:15], v[6:7], v[88:89]
	v_fma_f64 v[6:7], v[8:9], v[84:85], -v[16:17]
	v_fma_f64 v[12:13], v[130:131], v[96:97], -v[40:41]
	;; [unrolled: 1-line block ×3, first 2 shown]
	v_fmac_f64_e32 v[18:19], v[10:11], v[84:85]
	v_fma_f64 v[8:9], v[122:123], v[80:81], -v[20:21]
	v_fmac_f64_e32 v[22:23], v[124:125], v[80:81]
	v_fma_f64 v[10:11], v[126:127], v[76:77], -v[32:33]
	v_fmac_f64_e32 v[34:35], v[128:129], v[76:77]
	v_fmac_f64_e32 v[42:43], v[132:133], v[96:97]
	;; [unrolled: 1-line block ×3, first 2 shown]
	v_add_f64 v[20:21], v[4:5], v[16:17]
	v_add_f64 v[4:5], v[4:5], -v[16:17]
	v_add_f64 v[16:17], v[6:7], v[12:13]
	v_add_f64 v[32:33], v[14:15], v[46:47]
	v_add_f64 v[40:41], v[18:19], v[42:43]
	v_add_f64 v[6:7], v[6:7], -v[12:13]
	v_add_f64 v[12:13], v[18:19], -v[42:43]
	v_add_f64 v[18:19], v[8:9], v[10:11]
	v_add_f64 v[42:43], v[22:23], v[34:35]
	v_add_f64 v[8:9], v[10:11], -v[8:9]
	v_add_f64 v[10:11], v[34:35], -v[22:23]
	v_add_f64 v[22:23], v[16:17], v[20:21]
	v_add_f64 v[34:35], v[40:41], v[32:33]
	v_add_f64 v[44:45], v[16:17], -v[20:21]
	v_add_f64 v[20:21], v[20:21], -v[18:19]
	;; [unrolled: 1-line block ×3, first 2 shown]
	v_add_f64 v[18:19], v[18:19], v[22:23]
	v_add_f64 v[22:23], v[42:43], v[34:35]
	;; [unrolled: 1-line block ×3, first 2 shown]
	v_add_f64 v[14:15], v[14:15], -v[46:47]
	v_add_f64 v[46:47], v[40:41], -v[32:33]
	v_add_f64 v[32:33], v[32:33], -v[42:43]
	v_add_f64 v[2:3], v[2:3], v[22:23]
	v_mov_b64_e32 v[116:117], v[0:1]
	v_add_f64 v[40:41], v[42:43], -v[40:41]
	v_mul_f64 v[20:21], v[20:21], s[6:7]
	v_mul_f64 v[32:33], v[32:33], s[6:7]
	s_mov_b32 s6, 0xe976ee23
	v_fmac_f64_e32 v[116:117], s[14:15], v[18:19]
	v_mov_b64_e32 v[18:19], v[2:3]
	v_add_f64 v[48:49], v[8:9], v[6:7]
	v_add_f64 v[50:51], v[10:11], v[12:13]
	v_add_f64 v[100:101], v[8:9], -v[6:7]
	v_add_f64 v[102:103], v[10:11], -v[12:13]
	v_mul_f64 v[34:35], v[16:17], s[0:1]
	v_mul_f64 v[42:43], v[40:41], s[0:1]
	s_mov_b32 s7, 0xbfe11646
	v_fmac_f64_e32 v[18:19], s[14:15], v[22:23]
	s_mov_b32 s15, 0x3fe77f67
	s_mov_b32 s14, 0x5476071b
	v_add_f64 v[8:9], v[4:5], -v[8:9]
	v_add_f64 v[10:11], v[14:15], -v[10:11]
	;; [unrolled: 1-line block ×4, first 2 shown]
	v_add_f64 v[4:5], v[48:49], v[4:5]
	v_add_f64 v[14:15], v[50:51], v[14:15]
	v_mul_f64 v[48:49], v[100:101], s[6:7]
	v_mul_f64 v[50:51], v[102:103], s[6:7]
	s_mov_b32 s6, 0x429ad128
	v_fma_f64 v[22:23], v[44:45], s[14:15], -v[34:35]
	v_fma_f64 v[34:35], v[46:47], s[14:15], -v[42:43]
	s_mov_b32 s15, 0xbfe77f67
	s_mov_b32 s7, 0x3febfeb5
	v_fma_f64 v[16:17], s[0:1], v[16:17], v[20:21]
	v_fma_f64 v[42:43], v[46:47], s[14:15], -v[32:33]
	v_fmac_f64_e32 v[32:33], s[0:1], v[40:41]
	s_mov_b32 s1, 0x3fd5d0dc
	s_mov_b32 s0, 0xb247c609
	v_mul_f64 v[100:101], v[6:7], s[6:7]
	v_mul_f64 v[102:103], v[12:13], s[6:7]
	v_fma_f64 v[40:41], s[0:1], v[8:9], v[48:49]
	v_fma_f64 v[12:13], v[12:13], s[6:7], -v[50:51]
	v_fmac_f64_e32 v[50:51], s[0:1], v[10:11]
	s_mov_b32 s1, 0xbfd5d0dc
	v_fma_f64 v[20:21], v[44:45], s[14:15], -v[20:21]
	v_fma_f64 v[44:45], v[6:7], s[6:7], -v[48:49]
	;; [unrolled: 1-line block ×4, first 2 shown]
	s_mov_b32 s0, 0x37c3f68c
	s_mov_b32 s1, 0x3fdc38aa
	v_add_f64 v[16:17], v[16:17], v[116:117]
	v_add_f64 v[32:33], v[32:33], v[18:19]
	;; [unrolled: 1-line block ×6, first 2 shown]
	v_fmac_f64_e32 v[40:41], s[0:1], v[4:5]
	v_fmac_f64_e32 v[50:51], s[0:1], v[14:15]
	;; [unrolled: 1-line block ×6, first 2 shown]
	s_movk_i32 s6, 0x4000
	v_add_f64 v[4:5], v[50:51], v[16:17]
	v_add_f64 v[6:7], v[32:33], -v[40:41]
	v_add_f64 v[8:9], v[48:49], v[20:21]
	v_add_f64 v[10:11], v[18:19], -v[46:47]
	v_add_f64 v[122:123], v[22:23], -v[12:13]
	v_add_f64 v[124:125], v[44:45], v[34:35]
	v_add_f64 v[126:127], v[12:13], v[22:23]
	v_add_f64 v[128:129], v[34:35], -v[44:45]
	v_add_f64 v[130:131], v[20:21], -v[48:49]
	v_add_f64 v[132:133], v[46:47], v[18:19]
	v_add_f64 v[116:117], v[16:17], -v[50:51]
	v_add_f64 v[118:119], v[40:41], v[32:33]
	ds_write_b128 v144, v[0:3]
	ds_write_b128 v144, v[4:7] offset:2816
	ds_write_b128 v144, v[8:11] offset:5632
	ds_write_b128 v144, v[122:125] offset:8448
	ds_write_b128 v144, v[126:129] offset:11264
	ds_write_b128 v144, v[130:133] offset:14080
	ds_write_b128 v144, v[116:119] offset:16896
	v_add_co_u32_e32 v0, vcc, s6, v120
	s_movk_i32 s0, 0x7000
	s_nop 0
	v_addc_co_u32_e32 v1, vcc, 0, v121, vcc
	v_add_co_u32_e32 v12, vcc, s0, v120
	s_waitcnt lgkmcnt(0)
	s_barrier
	global_load_dwordx4 v[0:3], v[0:1], off offset:3328
	v_addc_co_u32_e32 v13, vcc, 0, v121, vcc
	global_load_dwordx4 v[4:7], v[12:13], off offset:896
	s_mov_b64 s[0:1], 0x4d00
	v_lshl_add_u64 v[122:123], v[120:121], 0, s[0:1]
	global_load_dwordx4 v[8:11], v[122:123], off offset:2816
	global_load_dwordx4 v[124:127], v[12:13], off offset:3712
	s_movk_i32 s0, 0x6000
	v_add_co_u32_e32 v12, vcc, s0, v120
	s_mov_b32 s0, 0x8000
	s_nop 0
	v_addc_co_u32_e32 v13, vcc, 0, v121, vcc
	global_load_dwordx4 v[128:131], v[12:13], off offset:768
	v_add_co_u32_e32 v12, vcc, s0, v120
	s_nop 1
	v_addc_co_u32_e32 v13, vcc, 0, v121, vcc
	global_load_dwordx4 v[132:135], v[12:13], off offset:2432
	ds_read_b128 v[136:139], v144
	ds_read_b128 v[140:143], v144 offset:2816
	ds_read_b128 v[156:159], v144 offset:9856
	s_waitcnt vmcnt(5) lgkmcnt(2)
	v_mul_f64 v[12:13], v[138:139], v[2:3]
	v_mul_f64 v[154:155], v[136:137], v[2:3]
	v_fma_f64 v[152:153], v[136:137], v[0:1], -v[12:13]
	v_fmac_f64_e32 v[154:155], v[138:139], v[0:1]
	ds_read_b128 v[0:3], v144 offset:5632
	s_waitcnt vmcnt(4) lgkmcnt(1)
	v_mul_f64 v[12:13], v[158:159], v[6:7]
	v_mul_f64 v[138:139], v[156:157], v[6:7]
	v_fma_f64 v[136:137], v[156:157], v[4:5], -v[12:13]
	v_fmac_f64_e32 v[138:139], v[158:159], v[4:5]
	ds_write_b128 v144, v[136:139] offset:9856
	ds_read_b128 v[136:139], v144 offset:12672
	s_waitcnt vmcnt(3)
	v_mul_f64 v[4:5], v[142:143], v[10:11]
	v_mul_f64 v[6:7], v[140:141], v[10:11]
	v_fma_f64 v[4:5], v[140:141], v[8:9], -v[4:5]
	v_fmac_f64_e32 v[6:7], v[142:143], v[8:9]
	ds_write_b128 v144, v[4:7] offset:2816
	ds_read_b128 v[4:7], v144 offset:15488
	s_waitcnt vmcnt(2) lgkmcnt(2)
	v_mul_f64 v[8:9], v[138:139], v[126:127]
	v_mul_f64 v[10:11], v[136:137], v[126:127]
	v_fma_f64 v[8:9], v[136:137], v[124:125], -v[8:9]
	v_fmac_f64_e32 v[10:11], v[138:139], v[124:125]
	ds_write_b128 v144, v[8:11] offset:12672
	s_waitcnt vmcnt(1)
	v_mul_f64 v[8:9], v[2:3], v[130:131]
	v_mul_f64 v[10:11], v[0:1], v[130:131]
	v_fma_f64 v[8:9], v[0:1], v[128:129], -v[8:9]
	v_fmac_f64_e32 v[10:11], v[2:3], v[128:129]
	s_waitcnt vmcnt(0) lgkmcnt(1)
	v_mul_f64 v[0:1], v[6:7], v[134:135]
	v_mul_f64 v[2:3], v[4:5], v[134:135]
	v_fma_f64 v[0:1], v[4:5], v[132:133], -v[0:1]
	v_fmac_f64_e32 v[2:3], v[6:7], v[132:133]
	ds_write_b128 v144, v[152:155]
	ds_write_b128 v144, v[8:11] offset:5632
	ds_write_b128 v144, v[0:3] offset:15488
	s_and_saveexec_b64 s[0:1], s[4:5]
	s_cbranch_execz .LBB0_25
; %bb.24:
	v_add_co_u32_e32 v0, vcc, 0x2000, v122
	s_nop 1
	v_addc_co_u32_e32 v1, vcc, 0, v123, vcc
	v_add_co_u32_e32 v4, vcc, s6, v122
	global_load_dwordx4 v[0:3], v[0:1], off offset:256
	s_nop 0
	v_addc_co_u32_e32 v5, vcc, 0, v123, vcc
	global_load_dwordx4 v[4:7], v[4:5], off offset:1920
	ds_read_b128 v[8:11], v144 offset:8448
	ds_read_b128 v[120:123], v144 offset:18304
	s_waitcnt vmcnt(1) lgkmcnt(1)
	v_mul_f64 v[12:13], v[10:11], v[2:3]
	v_mul_f64 v[126:127], v[8:9], v[2:3]
	v_fma_f64 v[124:125], v[8:9], v[0:1], -v[12:13]
	s_waitcnt vmcnt(0) lgkmcnt(0)
	v_mul_f64 v[14:15], v[122:123], v[6:7]
	v_mul_f64 v[2:3], v[120:121], v[6:7]
	v_fmac_f64_e32 v[126:127], v[10:11], v[0:1]
	v_fma_f64 v[0:1], v[120:121], v[4:5], -v[14:15]
	v_fmac_f64_e32 v[2:3], v[122:123], v[4:5]
	ds_write_b128 v144, v[124:127] offset:8448
	ds_write_b128 v144, v[0:3] offset:18304
.LBB0_25:
	s_or_b64 exec, exec, s[0:1]
	s_waitcnt lgkmcnt(0)
	s_barrier
	ds_read_b128 v[132:135], v144
	ds_read_b128 v[128:131], v144 offset:2816
	ds_read_b128 v[140:143], v144 offset:9856
	;; [unrolled: 1-line block ×5, first 2 shown]
	s_and_saveexec_b64 s[0:1], s[4:5]
	s_cbranch_execz .LBB0_27
; %bb.26:
	ds_read_b128 v[116:119], v144 offset:8448
	ds_read_b128 v[112:115], v144 offset:18304
.LBB0_27:
	s_or_b64 exec, exec, s[0:1]
	s_waitcnt lgkmcnt(3)
	v_add_f64 v[0:1], v[132:133], -v[140:141]
	v_add_f64 v[2:3], v[134:135], -v[142:143]
	v_fma_f64 v[4:5], v[132:133], 2.0, -v[0:1]
	v_fma_f64 v[6:7], v[134:135], 2.0, -v[2:3]
	s_waitcnt lgkmcnt(1)
	v_add_f64 v[8:9], v[128:129], -v[136:137]
	v_add_f64 v[10:11], v[130:131], -v[138:139]
	s_waitcnt lgkmcnt(0)
	v_add_f64 v[124:125], v[120:121], -v[124:125]
	v_add_f64 v[126:127], v[122:123], -v[126:127]
	v_fma_f64 v[128:129], v[128:129], 2.0, -v[8:9]
	v_fma_f64 v[130:131], v[130:131], 2.0, -v[10:11]
	;; [unrolled: 1-line block ×4, first 2 shown]
	v_add_f64 v[120:121], v[116:117], -v[112:113]
	v_add_f64 v[122:123], v[118:119], -v[114:115]
	s_barrier
	ds_write_b128 v151, v[4:7]
	ds_write_b128 v151, v[0:3] offset:16
	v_accvgpr_read_b32 v0, a33
	v_fma_f64 v[112:113], v[116:117], 2.0, -v[120:121]
	v_fma_f64 v[114:115], v[118:119], 2.0, -v[122:123]
	ds_write_b128 v0, v[128:131]
	ds_write_b128 v0, v[8:11] offset:16
	v_accvgpr_read_b32 v0, a34
	ds_write_b128 v0, v[132:135]
	ds_write_b128 v0, v[124:127] offset:16
	s_and_saveexec_b64 s[0:1], s[4:5]
	s_cbranch_execz .LBB0_29
; %bb.28:
	ds_write_b128 v150, v[112:115]
	ds_write_b128 v150, v[120:123] offset:16
.LBB0_29:
	s_or_b64 exec, exec, s[0:1]
	s_waitcnt lgkmcnt(0)
	s_barrier
	ds_read_b128 v[128:131], v144
	ds_read_b128 v[124:127], v144 offset:2816
	ds_read_b128 v[140:143], v144 offset:9856
	;; [unrolled: 1-line block ×5, first 2 shown]
	s_and_saveexec_b64 s[0:1], s[4:5]
	s_cbranch_execz .LBB0_31
; %bb.30:
	ds_read_b128 v[112:115], v144 offset:8448
	ds_read_b128 v[120:123], v144 offset:18304
.LBB0_31:
	s_or_b64 exec, exec, s[0:1]
	s_waitcnt lgkmcnt(3)
	v_mul_f64 v[0:1], v[26:27], v[142:143]
	v_mul_f64 v[2:3], v[26:27], v[140:141]
	s_waitcnt lgkmcnt(1)
	v_mul_f64 v[8:9], v[26:27], v[138:139]
	v_mul_f64 v[4:5], v[26:27], v[136:137]
	v_fmac_f64_e32 v[0:1], v[24:25], v[140:141]
	v_fma_f64 v[2:3], v[24:25], v[142:143], -v[2:3]
	v_fmac_f64_e32 v[8:9], v[24:25], v[136:137]
	v_fma_f64 v[10:11], v[24:25], v[138:139], -v[4:5]
	s_waitcnt lgkmcnt(0)
	v_mul_f64 v[12:13], v[26:27], v[134:135]
	v_mul_f64 v[4:5], v[26:27], v[132:133]
	v_fmac_f64_e32 v[12:13], v[24:25], v[132:133]
	v_fma_f64 v[14:15], v[24:25], v[134:135], -v[4:5]
	v_mul_f64 v[16:17], v[26:27], v[122:123]
	v_mul_f64 v[4:5], v[26:27], v[120:121]
	v_add_f64 v[0:1], v[128:129], -v[0:1]
	v_add_f64 v[2:3], v[130:131], -v[2:3]
	;; [unrolled: 1-line block ×4, first 2 shown]
	v_fmac_f64_e32 v[16:17], v[24:25], v[120:121]
	v_fma_f64 v[18:19], v[24:25], v[122:123], -v[4:5]
	v_fma_f64 v[4:5], v[128:129], 2.0, -v[0:1]
	v_fma_f64 v[6:7], v[130:131], 2.0, -v[2:3]
	;; [unrolled: 1-line block ×4, first 2 shown]
	v_add_f64 v[124:125], v[116:117], -v[12:13]
	v_add_f64 v[126:127], v[118:119], -v[14:15]
	v_accvgpr_read_b32 v12, a37
	v_fma_f64 v[128:129], v[116:117], 2.0, -v[124:125]
	v_fma_f64 v[130:131], v[118:119], 2.0, -v[126:127]
	v_add_f64 v[116:117], v[112:113], -v[16:17]
	v_add_f64 v[118:119], v[114:115], -v[18:19]
	s_barrier
	ds_write_b128 v12, v[4:7]
	ds_write_b128 v12, v[0:3] offset:32
	v_accvgpr_read_b32 v0, a36
	v_fma_f64 v[24:25], v[112:113], 2.0, -v[116:117]
	v_fma_f64 v[26:27], v[114:115], 2.0, -v[118:119]
	ds_write_b128 v0, v[120:123]
	ds_write_b128 v0, v[8:11] offset:32
	v_accvgpr_read_b32 v0, a35
	ds_write_b128 v0, v[128:131]
	ds_write_b128 v0, v[124:127] offset:32
	s_and_saveexec_b64 s[0:1], s[4:5]
	s_cbranch_execz .LBB0_33
; %bb.32:
	s_movk_i32 s6, 0x5fc
	v_and_or_b32 v0, v147, s6, v148
	v_lshlrev_b32_e32 v0, 4, v0
	ds_write_b128 v0, v[24:27]
	ds_write_b128 v0, v[116:119] offset:32
.LBB0_33:
	s_or_b64 exec, exec, s[0:1]
	s_waitcnt lgkmcnt(0)
	s_barrier
	ds_read_b128 v[124:127], v144
	ds_read_b128 v[120:123], v144 offset:2816
	ds_read_b128 v[136:139], v144 offset:9856
	;; [unrolled: 1-line block ×5, first 2 shown]
	s_and_saveexec_b64 s[0:1], s[4:5]
	s_cbranch_execz .LBB0_35
; %bb.34:
	ds_read_b128 v[24:27], v144 offset:8448
	ds_read_b128 v[116:119], v144 offset:18304
.LBB0_35:
	s_or_b64 exec, exec, s[0:1]
	s_waitcnt lgkmcnt(3)
	v_mul_f64 v[0:1], v[30:31], v[138:139]
	v_mul_f64 v[2:3], v[30:31], v[136:137]
	s_waitcnt lgkmcnt(1)
	v_mul_f64 v[8:9], v[30:31], v[134:135]
	v_mul_f64 v[4:5], v[30:31], v[132:133]
	v_fmac_f64_e32 v[0:1], v[28:29], v[136:137]
	v_fma_f64 v[2:3], v[28:29], v[138:139], -v[2:3]
	v_fmac_f64_e32 v[8:9], v[28:29], v[132:133]
	v_fma_f64 v[10:11], v[28:29], v[134:135], -v[4:5]
	s_waitcnt lgkmcnt(0)
	v_mul_f64 v[12:13], v[30:31], v[130:131]
	v_mul_f64 v[4:5], v[30:31], v[128:129]
	v_fmac_f64_e32 v[12:13], v[28:29], v[128:129]
	v_fma_f64 v[14:15], v[28:29], v[130:131], -v[4:5]
	v_mul_f64 v[16:17], v[30:31], v[118:119]
	v_mul_f64 v[4:5], v[30:31], v[116:117]
	v_add_f64 v[0:1], v[124:125], -v[0:1]
	v_add_f64 v[2:3], v[126:127], -v[2:3]
	;; [unrolled: 1-line block ×3, first 2 shown]
	v_fmac_f64_e32 v[16:17], v[28:29], v[116:117]
	v_fma_f64 v[18:19], v[28:29], v[118:119], -v[4:5]
	v_fma_f64 v[4:5], v[124:125], 2.0, -v[0:1]
	v_fma_f64 v[6:7], v[126:127], 2.0, -v[2:3]
	v_add_f64 v[10:11], v[122:123], -v[10:11]
	v_fma_f64 v[116:117], v[120:121], 2.0, -v[8:9]
	v_add_f64 v[120:121], v[112:113], -v[12:13]
	v_accvgpr_read_b32 v12, a44
	v_fma_f64 v[118:119], v[122:123], 2.0, -v[10:11]
	v_add_f64 v[122:123], v[114:115], -v[14:15]
	v_add_f64 v[28:29], v[24:25], -v[16:17]
	v_add_f64 v[30:31], v[26:27], -v[18:19]
	s_barrier
	ds_write_b128 v12, v[4:7]
	ds_write_b128 v12, v[0:3] offset:64
	v_accvgpr_read_b32 v0, a39
	v_fma_f64 v[112:113], v[112:113], 2.0, -v[120:121]
	v_fma_f64 v[114:115], v[114:115], 2.0, -v[122:123]
	v_fma_f64 v[128:129], v[24:25], 2.0, -v[28:29]
	v_fma_f64 v[130:131], v[26:27], 2.0, -v[30:31]
	ds_write_b128 v0, v[116:119]
	ds_write_b128 v0, v[8:11] offset:64
	v_accvgpr_read_b32 v0, a38
	ds_write_b128 v0, v[112:115]
	ds_write_b128 v0, v[120:123] offset:64
	s_and_saveexec_b64 s[0:1], s[4:5]
	s_cbranch_execz .LBB0_37
; %bb.36:
	s_movk_i32 s6, 0x5f8
	v_and_or_b32 v0, v147, s6, v149
	v_lshlrev_b32_e32 v0, 4, v0
	ds_write_b128 v0, v[128:131]
	ds_write_b128 v0, v[28:31] offset:64
.LBB0_37:
	s_or_b64 exec, exec, s[0:1]
	s_waitcnt lgkmcnt(0)
	s_barrier
	ds_read_b128 v[24:27], v144
	ds_read_b128 v[120:123], v144 offset:2816
	ds_read_b128 v[132:135], v144 offset:9856
	;; [unrolled: 1-line block ×5, first 2 shown]
	s_and_saveexec_b64 s[0:1], s[4:5]
	s_cbranch_execz .LBB0_39
; %bb.38:
	ds_read_b128 v[128:131], v144 offset:8448
	ds_read_b128 v[28:31], v144 offset:18304
.LBB0_39:
	s_or_b64 exec, exec, s[0:1]
	s_waitcnt lgkmcnt(3)
	v_mul_f64 v[0:1], v[38:39], v[134:135]
	v_mul_f64 v[2:3], v[38:39], v[132:133]
	v_fmac_f64_e32 v[0:1], v[36:37], v[132:133]
	v_fma_f64 v[2:3], v[36:37], v[134:135], -v[2:3]
	s_waitcnt lgkmcnt(1)
	v_mul_f64 v[4:5], v[38:39], v[126:127]
	v_mul_f64 v[6:7], v[38:39], v[124:125]
	s_waitcnt lgkmcnt(0)
	v_mul_f64 v[12:13], v[38:39], v[30:31]
	v_mul_f64 v[14:15], v[38:39], v[28:29]
	v_fmac_f64_e32 v[4:5], v[36:37], v[124:125]
	v_fma_f64 v[6:7], v[36:37], v[126:127], -v[6:7]
	v_mul_f64 v[8:9], v[38:39], v[114:115]
	v_mul_f64 v[10:11], v[38:39], v[112:113]
	v_fmac_f64_e32 v[12:13], v[36:37], v[28:29]
	v_fma_f64 v[14:15], v[36:37], v[30:31], -v[14:15]
	v_add_f64 v[28:29], v[24:25], -v[0:1]
	v_add_f64 v[30:31], v[26:27], -v[2:3]
	v_fmac_f64_e32 v[8:9], v[36:37], v[112:113]
	v_fma_f64 v[10:11], v[36:37], v[114:115], -v[10:11]
	v_fma_f64 v[24:25], v[24:25], 2.0, -v[28:29]
	v_fma_f64 v[26:27], v[26:27], 2.0, -v[30:31]
	v_add_f64 v[112:113], v[120:121], -v[4:5]
	v_add_f64 v[114:115], v[122:123], -v[6:7]
	v_accvgpr_read_b32 v0, a55
	v_fma_f64 v[36:37], v[120:121], 2.0, -v[112:113]
	v_fma_f64 v[38:39], v[122:123], 2.0, -v[114:115]
	v_add_f64 v[120:121], v[116:117], -v[8:9]
	v_add_f64 v[122:123], v[118:119], -v[10:11]
	;; [unrolled: 1-line block ×4, first 2 shown]
	s_barrier
	ds_write_b128 v0, v[24:27]
	ds_write_b128 v0, v[28:31] offset:128
	v_accvgpr_read_b32 v0, a54
	v_fma_f64 v[116:117], v[116:117], 2.0, -v[120:121]
	v_fma_f64 v[118:119], v[118:119], 2.0, -v[122:123]
	;; [unrolled: 1-line block ×4, first 2 shown]
	ds_write_b128 v0, v[36:39]
	ds_write_b128 v0, v[112:115] offset:128
	v_accvgpr_read_b32 v0, a45
	ds_write_b128 v0, v[116:119]
	ds_write_b128 v0, v[120:123] offset:128
	s_and_saveexec_b64 s[0:1], s[4:5]
	s_cbranch_execz .LBB0_41
; %bb.40:
	s_movk_i32 s6, 0x5f0
	v_and_or_b32 v0, v147, s6, v145
	v_lshlrev_b32_e32 v0, 4, v0
	ds_write_b128 v0, v[128:131]
	ds_write_b128 v0, v[124:127] offset:128
.LBB0_41:
	s_or_b64 exec, exec, s[0:1]
	s_waitcnt lgkmcnt(0)
	s_barrier
	s_and_saveexec_b64 s[0:1], s[2:3]
	s_cbranch_execz .LBB0_43
; %bb.42:
	ds_read_b128 v[24:27], v144
	ds_read_b128 v[28:31], v144 offset:1792
	ds_read_b128 v[36:39], v144 offset:3584
	;; [unrolled: 1-line block ×10, first 2 shown]
.LBB0_43:
	s_or_b64 exec, exec, s[0:1]
	s_waitcnt lgkmcnt(0)
	s_barrier
	s_and_saveexec_b64 s[0:1], s[2:3]
	s_cbranch_execz .LBB0_45
; %bb.44:
	v_mul_f64 v[132:133], v[74:75], v[122:123]
	v_mul_f64 v[2:3], v[74:75], v[120:121]
	v_accvgpr_read_b32 v8, a56
	v_fmac_f64_e32 v[132:133], v[72:73], v[120:121]
	v_mul_f64 v[134:135], v[70:71], v[130:131]
	v_fma_f64 v[72:73], v[72:73], v[122:123], -v[2:3]
	v_mul_f64 v[2:3], v[70:71], v[128:129]
	v_accvgpr_read_b32 v10, a58
	v_accvgpr_read_b32 v11, a59
	;; [unrolled: 1-line block ×3, first 2 shown]
	v_fmac_f64_e32 v[134:135], v[68:69], v[128:129]
	v_fma_f64 v[74:75], v[68:69], v[130:131], -v[2:3]
	v_accvgpr_read_b32 v9, a57
	v_mul_f64 v[68:69], v[10:11], v[118:119]
	v_mul_f64 v[6:7], v[10:11], v[116:117]
	v_accvgpr_read_b32 v14, a52
	v_accvgpr_read_b32 v15, a53
	;; [unrolled: 1-line block ×3, first 2 shown]
	v_fmac_f64_e32 v[68:69], v[8:9], v[116:117]
	v_mul_f64 v[70:71], v[66:67], v[126:127]
	v_fma_f64 v[116:117], v[8:9], v[118:119], -v[6:7]
	v_mul_f64 v[6:7], v[66:67], v[124:125]
	v_accvgpr_read_b32 v13, a51
	v_mul_f64 v[10:11], v[14:15], v[112:113]
	v_accvgpr_read_b32 v18, a48
	v_accvgpr_read_b32 v19, a49
	v_accvgpr_read_b32 v20, a40
	v_accvgpr_read_b32 v32, a62
	v_fmac_f64_e32 v[70:71], v[64:65], v[124:125]
	v_fma_f64 v[50:51], v[64:65], v[126:127], -v[6:7]
	v_mul_f64 v[64:65], v[14:15], v[114:115]
	v_mul_f64 v[48:49], v[58:59], v[110:111]
	v_fma_f64 v[66:67], v[12:13], v[114:115], -v[10:11]
	v_mul_f64 v[10:11], v[58:59], v[108:109]
	v_accvgpr_read_b32 v17, a47
	v_mul_f64 v[14:15], v[18:19], v[36:37]
	v_accvgpr_read_b32 v22, a42
	v_accvgpr_read_b32 v23, a43
	;; [unrolled: 1-line block ×4, first 2 shown]
	v_fmac_f64_e32 v[48:49], v[56:57], v[108:109]
	v_fma_f64 v[46:47], v[56:57], v[110:111], -v[10:11]
	v_mul_f64 v[56:57], v[18:19], v[38:39]
	v_mul_f64 v[44:45], v[62:63], v[106:107]
	v_fma_f64 v[108:109], v[16:17], v[38:39], -v[14:15]
	v_mul_f64 v[14:15], v[62:63], v[104:105]
	v_accvgpr_read_b32 v21, a41
	v_mul_f64 v[62:63], v[22:23], v[30:31]
	v_accvgpr_read_b32 v33, a63
	v_mul_f64 v[58:59], v[54:55], v[34:35]
	v_mul_f64 v[18:19], v[22:23], v[28:29]
	v_fmac_f64_e32 v[44:45], v[60:61], v[104:105]
	v_fmac_f64_e32 v[62:63], v[20:21], v[28:29]
	;; [unrolled: 1-line block ×3, first 2 shown]
	s_mov_b32 s26, 0xfd768dbf
	v_fma_f64 v[104:105], v[20:21], v[30:31], -v[18:19]
	v_mul_f64 v[18:19], v[54:55], v[32:33]
	v_fmac_f64_e32 v[56:57], v[16:17], v[36:37]
	s_mov_b32 s28, 0xf8bb580b
	v_add_f64 v[130:131], v[62:63], -v[58:59]
	s_mov_b32 s27, 0xbfd207e7
	v_fma_f64 v[52:53], v[52:53], v[34:35], -v[18:19]
	s_mov_b32 s24, 0x9bcd5057
	v_fmac_f64_e32 v[64:65], v[12:13], v[112:113]
	s_mov_b32 s22, 0xbb3a28a1
	v_add_f64 v[112:113], v[56:57], -v[44:45]
	s_mov_b32 s29, 0x3fe14ced
	v_fma_f64 v[60:61], v[60:61], v[106:107], -v[14:15]
	s_mov_b32 s20, 0x8764f0ba
	v_mul_f64 v[16:17], v[130:131], s[26:27]
	v_add_f64 v[54:55], v[104:105], v[52:53]
	s_mov_b32 s25, 0xbfeeb42a
	v_add_f64 v[124:125], v[64:65], -v[48:49]
	s_mov_b32 s23, 0xbfe82f19
	s_mov_b32 s18, 0x7f775887
	v_mul_f64 v[12:13], v[112:113], s[28:29]
	v_add_f64 v[106:107], v[108:109], v[60:61]
	s_mov_b32 s21, 0x3feaeb8c
	v_fma_f64 v[18:19], s[24:25], v[54:55], v[16:17]
	v_add_f64 v[154:155], v[104:105], -v[52:53]
	s_mov_b32 s6, 0x43842ef
	v_add_f64 v[122:123], v[68:69], -v[70:71]
	s_mov_b32 s17, 0x3fed1bb4
	s_mov_b32 s16, 0x8eee2c13
	;; [unrolled: 1-line block ×3, first 2 shown]
	v_mul_f64 v[8:9], v[124:125], s[22:23]
	v_add_f64 v[110:111], v[66:67], v[46:47]
	s_mov_b32 s19, 0xbfe4f49e
	v_fma_f64 v[14:15], s[20:21], v[106:107], v[12:13]
	v_add_f64 v[18:19], v[26:27], v[18:19]
	v_add_f64 v[152:153], v[108:109], -v[60:61]
	v_add_f64 v[128:129], v[62:63], v[58:59]
	v_mul_f64 v[32:33], v[154:155], s[26:27]
	v_add_f64 v[136:137], v[132:133], -v[134:135]
	s_mov_b32 s7, 0xbfefac9e
	s_mov_b32 s2, 0x640f44db
	v_mul_f64 v[4:5], v[122:123], s[16:17]
	v_add_f64 v[118:119], v[116:117], v[50:51]
	s_mov_b32 s15, 0x3fda9628
	v_fma_f64 v[10:11], s[18:19], v[110:111], v[8:9]
	v_add_f64 v[14:15], v[14:15], v[18:19]
	v_add_f64 v[142:143], v[66:67], -v[46:47]
	v_add_f64 v[126:127], v[56:57], v[44:45]
	v_mul_f64 v[22:23], v[152:153], s[28:29]
	v_fma_f64 v[34:35], v[128:129], s[24:25], -v[32:33]
	v_mul_f64 v[0:1], v[136:137], s[6:7]
	v_add_f64 v[120:121], v[72:73], v[74:75]
	s_mov_b32 s3, 0xbfc2375f
	v_fma_f64 v[6:7], s[14:15], v[118:119], v[4:5]
	v_add_f64 v[10:11], v[10:11], v[14:15]
	v_add_f64 v[140:141], v[116:117], -v[50:51]
	v_add_f64 v[114:115], v[64:65], v[48:49]
	v_mul_f64 v[18:19], v[142:143], s[22:23]
	v_fma_f64 v[28:29], v[126:127], s[20:21], -v[22:23]
	v_add_f64 v[34:35], v[24:25], v[34:35]
	v_fma_f64 v[2:3], s[2:3], v[120:121], v[0:1]
	v_add_f64 v[6:7], v[6:7], v[10:11]
	v_add_f64 v[138:139], v[72:73], -v[74:75]
	v_add_f64 v[102:103], v[68:69], v[70:71]
	v_mul_f64 v[10:11], v[140:141], s[16:17]
	v_fma_f64 v[20:21], v[114:115], s[18:19], -v[18:19]
	v_add_f64 v[28:29], v[28:29], v[34:35]
	v_add_f64 v[30:31], v[2:3], v[6:7]
	;; [unrolled: 1-line block ×3, first 2 shown]
	v_mul_f64 v[2:3], v[138:139], s[6:7]
	v_fma_f64 v[14:15], v[102:103], s[14:15], -v[10:11]
	v_add_f64 v[20:21], v[20:21], v[28:29]
	v_fma_f64 v[6:7], v[100:101], s[2:3], -v[2:3]
	v_add_f64 v[14:15], v[14:15], v[20:21]
	v_add_f64 v[28:29], v[6:7], v[14:15]
	v_fma_f64 v[6:7], v[110:111], s[18:19], -v[8:9]
	v_fma_f64 v[8:9], v[106:107], s[20:21], -v[12:13]
	;; [unrolled: 1-line block ×3, first 2 shown]
	v_add_f64 v[12:13], v[26:27], v[12:13]
	v_add_f64 v[8:9], v[8:9], v[12:13]
	v_fma_f64 v[4:5], v[118:119], s[14:15], -v[4:5]
	v_add_f64 v[6:7], v[6:7], v[8:9]
	v_fma_f64 v[0:1], v[120:121], s[2:3], -v[0:1]
	v_add_f64 v[4:5], v[4:5], v[6:7]
	v_fmac_f64_e32 v[32:33], s[24:25], v[128:129]
	v_add_f64 v[34:35], v[0:1], v[4:5]
	v_fmac_f64_e32 v[22:23], s[20:21], v[126:127]
	;; [unrolled: 2-line block ×3, first 2 shown]
	v_add_f64 v[0:1], v[22:23], v[0:1]
	s_mov_b32 s35, 0x3fefac9e
	s_mov_b32 s34, s6
	v_mul_f64 v[16:17], v[130:131], s[22:23]
	v_add_f64 v[0:1], v[18:19], v[0:1]
	s_mov_b32 s31, 0xbfe14ced
	s_mov_b32 s30, s28
	v_mul_f64 v[12:13], v[112:113], s[34:35]
	v_fma_f64 v[18:19], s[18:19], v[54:55], v[16:17]
	v_fmac_f64_e32 v[10:11], s[14:15], v[102:103]
	v_mul_f64 v[8:9], v[124:125], s[30:31]
	v_fma_f64 v[14:15], s[2:3], v[106:107], v[12:13]
	v_add_f64 v[18:19], v[26:27], v[18:19]
	v_mul_f64 v[40:41], v[154:155], s[22:23]
	v_fmac_f64_e32 v[2:3], s[2:3], v[100:101]
	v_add_f64 v[0:1], v[10:11], v[0:1]
	v_mul_f64 v[4:5], v[122:123], s[26:27]
	v_fma_f64 v[10:11], s[20:21], v[110:111], v[8:9]
	v_add_f64 v[14:15], v[14:15], v[18:19]
	v_mul_f64 v[22:23], v[152:153], s[34:35]
	v_fma_f64 v[42:43], v[128:129], s[18:19], -v[40:41]
	v_add_f64 v[32:33], v[2:3], v[0:1]
	v_mul_f64 v[0:1], v[136:137], s[16:17]
	v_fma_f64 v[6:7], s[24:25], v[118:119], v[4:5]
	v_add_f64 v[10:11], v[10:11], v[14:15]
	v_mul_f64 v[18:19], v[142:143], s[30:31]
	v_fma_f64 v[36:37], v[126:127], s[2:3], -v[22:23]
	v_add_f64 v[42:43], v[24:25], v[42:43]
	v_fma_f64 v[2:3], s[14:15], v[120:121], v[0:1]
	v_add_f64 v[6:7], v[6:7], v[10:11]
	v_mul_f64 v[10:11], v[140:141], s[26:27]
	v_fma_f64 v[20:21], v[114:115], s[20:21], -v[18:19]
	v_add_f64 v[36:37], v[36:37], v[42:43]
	v_add_f64 v[38:39], v[2:3], v[6:7]
	v_mul_f64 v[2:3], v[138:139], s[16:17]
	v_fma_f64 v[14:15], v[102:103], s[24:25], -v[10:11]
	v_add_f64 v[20:21], v[20:21], v[36:37]
	v_fma_f64 v[6:7], v[100:101], s[14:15], -v[2:3]
	v_add_f64 v[14:15], v[14:15], v[20:21]
	v_add_f64 v[36:37], v[6:7], v[14:15]
	v_fma_f64 v[6:7], v[110:111], s[20:21], -v[8:9]
	v_fma_f64 v[8:9], v[106:107], s[2:3], -v[12:13]
	;; [unrolled: 1-line block ×3, first 2 shown]
	v_add_f64 v[12:13], v[26:27], v[12:13]
	v_add_f64 v[8:9], v[8:9], v[12:13]
	v_fma_f64 v[4:5], v[118:119], s[24:25], -v[4:5]
	v_add_f64 v[6:7], v[6:7], v[8:9]
	v_fma_f64 v[0:1], v[120:121], s[14:15], -v[0:1]
	v_add_f64 v[4:5], v[4:5], v[6:7]
	v_fmac_f64_e32 v[40:41], s[18:19], v[128:129]
	v_add_f64 v[42:43], v[0:1], v[4:5]
	v_fmac_f64_e32 v[22:23], s[2:3], v[126:127]
	;; [unrolled: 2-line block ×3, first 2 shown]
	v_add_f64 v[0:1], v[22:23], v[0:1]
	s_mov_b32 s37, 0x3fd207e7
	s_mov_b32 s36, s26
	v_mul_f64 v[16:17], v[130:131], s[6:7]
	v_add_f64 v[0:1], v[18:19], v[0:1]
	v_mul_f64 v[12:13], v[112:113], s[36:37]
	v_fma_f64 v[18:19], s[2:3], v[54:55], v[16:17]
	v_fma_f64 v[16:17], v[54:55], s[2:3], -v[16:17]
	v_fmac_f64_e32 v[10:11], s[24:25], v[102:103]
	v_mul_f64 v[8:9], v[124:125], s[16:17]
	v_fma_f64 v[14:15], s[24:25], v[106:107], v[12:13]
	v_fma_f64 v[12:13], v[106:107], s[24:25], -v[12:13]
	v_add_f64 v[16:17], v[26:27], v[16:17]
	v_fmac_f64_e32 v[2:3], s[14:15], v[100:101]
	v_add_f64 v[0:1], v[10:11], v[0:1]
	v_mul_f64 v[6:7], v[122:123], s[30:31]
	v_fma_f64 v[10:11], s[14:15], v[110:111], v[8:9]
	v_fma_f64 v[8:9], v[110:111], s[14:15], -v[8:9]
	v_add_f64 v[12:13], v[12:13], v[16:17]
	v_add_f64 v[40:41], v[2:3], v[0:1]
	v_mul_f64 v[4:5], v[136:137], s[22:23]
	v_fma_f64 v[2:3], s[20:21], v[118:119], v[6:7]
	v_mul_f64 v[150:151], v[154:155], s[6:7]
	v_fma_f64 v[6:7], v[118:119], s[20:21], -v[6:7]
	v_add_f64 v[8:9], v[8:9], v[12:13]
	v_fma_f64 v[0:1], s[18:19], v[120:121], v[4:5]
	v_add_f64 v[18:19], v[26:27], v[18:19]
	v_mov_b32_e32 v166, v146
	v_mul_f64 v[146:147], v[152:153], s[36:37]
	v_fma_f64 v[156:157], v[128:129], s[2:3], -v[150:151]
	v_fma_f64 v[4:5], v[120:121], s[18:19], -v[4:5]
	v_add_f64 v[6:7], v[6:7], v[8:9]
	v_fmac_f64_e32 v[150:151], s[2:3], v[128:129]
	v_add_f64 v[14:15], v[14:15], v[18:19]
	v_mul_f64 v[20:21], v[142:143], s[16:17]
	v_fma_f64 v[148:149], v[126:127], s[24:25], -v[146:147]
	v_add_f64 v[156:157], v[24:25], v[156:157]
	v_add_f64 v[6:7], v[4:5], v[6:7]
	v_fmac_f64_e32 v[146:147], s[24:25], v[126:127]
	v_add_f64 v[4:5], v[24:25], v[150:151]
	s_mov_b32 s17, 0xbfed1bb4
	v_add_f64 v[10:11], v[10:11], v[14:15]
	v_mul_f64 v[14:15], v[140:141], s[30:31]
	v_fma_f64 v[22:23], v[114:115], s[14:15], -v[20:21]
	v_add_f64 v[148:149], v[148:149], v[156:157]
	v_fmac_f64_e32 v[20:21], s[14:15], v[114:115]
	v_add_f64 v[4:5], v[146:147], v[4:5]
	v_mul_f64 v[146:147], v[130:131], s[16:17]
	v_add_f64 v[2:3], v[2:3], v[10:11]
	v_mul_f64 v[10:11], v[138:139], s[22:23]
	v_fma_f64 v[18:19], v[102:103], s[20:21], -v[14:15]
	v_add_f64 v[22:23], v[22:23], v[148:149]
	v_add_f64 v[4:5], v[20:21], v[4:5]
	v_mul_f64 v[20:21], v[112:113], s[22:23]
	v_fma_f64 v[148:149], s[14:15], v[54:55], v[146:147]
	v_fma_f64 v[146:147], v[54:55], s[14:15], -v[146:147]
	v_add_f64 v[2:3], v[0:1], v[2:3]
	v_fma_f64 v[0:1], v[100:101], s[18:19], -v[10:11]
	v_add_f64 v[18:19], v[18:19], v[22:23]
	v_fmac_f64_e32 v[14:15], s[20:21], v[102:103]
	v_mul_f64 v[16:17], v[124:125], s[36:37]
	v_fma_f64 v[22:23], s[18:19], v[106:107], v[20:21]
	v_fma_f64 v[20:21], v[106:107], s[18:19], -v[20:21]
	v_add_f64 v[146:147], v[26:27], v[146:147]
	v_add_f64 v[0:1], v[0:1], v[18:19]
	v_fmac_f64_e32 v[10:11], s[18:19], v[100:101]
	v_add_f64 v[4:5], v[14:15], v[4:5]
	v_mul_f64 v[14:15], v[122:123], s[34:35]
	v_fma_f64 v[18:19], s[24:25], v[110:111], v[16:17]
	v_fma_f64 v[16:17], v[110:111], s[24:25], -v[16:17]
	v_add_f64 v[20:21], v[20:21], v[146:147]
	v_add_f64 v[4:5], v[10:11], v[4:5]
	v_mul_f64 v[12:13], v[136:137], s[28:29]
	v_fma_f64 v[10:11], s[2:3], v[118:119], v[14:15]
	v_mul_f64 v[162:163], v[154:155], s[16:17]
	v_fma_f64 v[14:15], v[118:119], s[2:3], -v[14:15]
	v_add_f64 v[16:17], v[16:17], v[20:21]
	v_fma_f64 v[8:9], s[20:21], v[120:121], v[12:13]
	v_add_f64 v[148:149], v[26:27], v[148:149]
	v_mul_f64 v[158:159], v[152:153], s[22:23]
	v_fma_f64 v[164:165], v[128:129], s[14:15], -v[162:163]
	v_fma_f64 v[12:13], v[120:121], s[20:21], -v[12:13]
	v_add_f64 v[14:15], v[14:15], v[16:17]
	v_fmac_f64_e32 v[162:163], s[14:15], v[128:129]
	v_mul_f64 v[130:131], v[130:131], s[30:31]
	v_add_f64 v[22:23], v[22:23], v[148:149]
	v_mul_f64 v[150:151], v[142:143], s[36:37]
	v_fma_f64 v[160:161], v[126:127], s[18:19], -v[158:159]
	v_add_f64 v[14:15], v[12:13], v[14:15]
	v_fmac_f64_e32 v[158:159], s[18:19], v[126:127]
	v_add_f64 v[12:13], v[24:25], v[162:163]
	v_mul_f64 v[112:113], v[112:113], s[16:17]
	v_fma_f64 v[146:147], s[20:21], v[54:55], v[130:131]
	v_add_f64 v[18:19], v[18:19], v[22:23]
	v_mul_f64 v[22:23], v[140:141], s[34:35]
	v_fma_f64 v[156:157], v[114:115], s[24:25], -v[150:151]
	v_add_f64 v[164:165], v[24:25], v[164:165]
	v_fmac_f64_e32 v[150:151], s[24:25], v[114:115]
	v_add_f64 v[12:13], v[158:159], v[12:13]
	v_mul_f64 v[16:17], v[136:137], s[26:27]
	v_mul_f64 v[136:137], v[124:125], s[6:7]
	v_fma_f64 v[124:125], s[14:15], v[106:107], v[112:113]
	v_add_f64 v[146:147], v[26:27], v[146:147]
	v_add_f64 v[10:11], v[10:11], v[18:19]
	v_mul_f64 v[18:19], v[138:139], s[28:29]
	v_fma_f64 v[148:149], v[102:103], s[2:3], -v[22:23]
	v_add_f64 v[160:161], v[160:161], v[164:165]
	v_fmac_f64_e32 v[22:23], s[2:3], v[102:103]
	v_add_f64 v[12:13], v[150:151], v[12:13]
	v_mul_f64 v[20:21], v[122:123], s[22:23]
	v_fma_f64 v[122:123], s[2:3], v[110:111], v[136:137]
	v_add_f64 v[124:125], v[124:125], v[146:147]
	v_add_f64 v[10:11], v[8:9], v[10:11]
	v_fma_f64 v[8:9], v[100:101], s[20:21], -v[18:19]
	v_add_f64 v[156:157], v[156:157], v[160:161]
	v_fmac_f64_e32 v[18:19], s[20:21], v[100:101]
	v_add_f64 v[12:13], v[22:23], v[12:13]
	v_fma_f64 v[22:23], s[18:19], v[118:119], v[20:21]
	v_add_f64 v[122:123], v[122:123], v[124:125]
	v_mul_f64 v[150:151], v[154:155], s[30:31]
	v_add_f64 v[148:149], v[148:149], v[156:157]
	v_add_f64 v[12:13], v[18:19], v[12:13]
	v_fma_f64 v[18:19], s[24:25], v[120:121], v[16:17]
	v_add_f64 v[22:23], v[22:23], v[122:123]
	v_mul_f64 v[146:147], v[152:153], s[16:17]
	v_fma_f64 v[152:153], v[128:129], s[20:21], -v[150:151]
	v_add_f64 v[8:9], v[8:9], v[148:149]
	v_add_f64 v[124:125], v[18:19], v[22:23]
	v_mul_f64 v[18:19], v[138:139], s[26:27]
	v_mul_f64 v[138:139], v[140:141], s[22:23]
	;; [unrolled: 1-line block ×3, first 2 shown]
	v_fma_f64 v[148:149], v[126:127], s[14:15], -v[146:147]
	v_add_f64 v[152:153], v[24:25], v[152:153]
	v_fma_f64 v[142:143], v[114:115], s[2:3], -v[140:141]
	v_add_f64 v[148:149], v[148:149], v[152:153]
	;; [unrolled: 2-line block ×3, first 2 shown]
	v_fma_f64 v[54:55], v[54:55], s[20:21], -v[130:131]
	v_fma_f64 v[22:23], v[100:101], s[24:25], -v[18:19]
	v_add_f64 v[122:123], v[122:123], v[142:143]
	v_fma_f64 v[106:107], v[106:107], s[14:15], -v[112:113]
	v_add_f64 v[54:55], v[26:27], v[54:55]
	v_add_f64 v[122:123], v[22:23], v[122:123]
	v_fma_f64 v[22:23], v[110:111], s[2:3], -v[136:137]
	v_add_f64 v[54:55], v[106:107], v[54:55]
	v_fma_f64 v[20:21], v[118:119], s[18:19], -v[20:21]
	;; [unrolled: 2-line block ×3, first 2 shown]
	v_add_f64 v[20:21], v[20:21], v[22:23]
	v_fmac_f64_e32 v[150:151], s[20:21], v[128:129]
	v_add_f64 v[112:113], v[16:17], v[20:21]
	v_fmac_f64_e32 v[146:147], s[14:15], v[126:127]
	v_add_f64 v[16:17], v[24:25], v[150:151]
	v_fmac_f64_e32 v[140:141], s[2:3], v[114:115]
	v_add_f64 v[16:17], v[146:147], v[16:17]
	v_fmac_f64_e32 v[138:139], s[18:19], v[102:103]
	v_add_f64 v[16:17], v[140:141], v[16:17]
	v_fmac_f64_e32 v[18:19], s[24:25], v[100:101]
	v_add_f64 v[16:17], v[138:139], v[16:17]
	v_add_f64 v[110:111], v[18:19], v[16:17]
	;; [unrolled: 1-line block ×22, first 2 shown]
	v_accvgpr_read_b32 v16, a60
	v_mul_u32_u24_e32 v16, 0xb0, v16
	v_accvgpr_read_b32 v17, a28
	v_or_b32_e32 v16, v16, v17
	v_mov_b32_e32 v146, v166
	v_lshlrev_b32_e32 v16, 4, v16
	ds_write_b128 v16, v[24:27]
	ds_write_b128 v16, v[110:113] offset:256
	ds_write_b128 v16, v[12:15] offset:512
	;; [unrolled: 1-line block ×10, first 2 shown]
.LBB0_45:
	s_or_b64 exec, exec, s[0:1]
	s_waitcnt lgkmcnt(0)
	s_barrier
	ds_read_b128 v[0:3], v144
	ds_read_b128 v[4:7], v144 offset:2816
	ds_read_b128 v[8:11], v144 offset:5632
	;; [unrolled: 1-line block ×6, first 2 shown]
	s_waitcnt lgkmcnt(5)
	v_mul_f64 v[16:17], v[90:91], v[6:7]
	v_fmac_f64_e32 v[16:17], v[88:89], v[4:5]
	v_mul_f64 v[4:5], v[90:91], v[4:5]
	v_fma_f64 v[4:5], v[88:89], v[6:7], -v[4:5]
	s_waitcnt lgkmcnt(4)
	v_mul_f64 v[6:7], v[86:87], v[10:11]
	v_fmac_f64_e32 v[6:7], v[84:85], v[8:9]
	v_mul_f64 v[8:9], v[86:87], v[8:9]
	v_fma_f64 v[8:9], v[84:85], v[10:11], -v[8:9]
	s_waitcnt lgkmcnt(3)
	v_mul_f64 v[10:11], v[82:83], v[14:15]
	v_fmac_f64_e32 v[10:11], v[80:81], v[12:13]
	v_mul_f64 v[12:13], v[82:83], v[12:13]
	v_fma_f64 v[12:13], v[80:81], v[14:15], -v[12:13]
	s_waitcnt lgkmcnt(2)
	v_mul_f64 v[14:15], v[78:79], v[32:33]
	v_fmac_f64_e32 v[14:15], v[76:77], v[30:31]
	v_mul_f64 v[18:19], v[78:79], v[30:31]
	s_waitcnt lgkmcnt(1)
	v_mul_f64 v[20:21], v[98:99], v[36:37]
	s_waitcnt lgkmcnt(0)
	v_mul_f64 v[30:31], v[94:95], v[40:41]
	v_fma_f64 v[18:19], v[76:77], v[32:33], -v[18:19]
	v_fmac_f64_e32 v[20:21], v[96:97], v[34:35]
	v_mul_f64 v[22:23], v[98:99], v[34:35]
	v_fmac_f64_e32 v[30:31], v[92:93], v[38:39]
	v_mul_f64 v[32:33], v[94:95], v[38:39]
	v_accvgpr_read_b32 v52, a18
	v_fma_f64 v[22:23], v[96:97], v[36:37], -v[22:23]
	v_fma_f64 v[32:33], v[92:93], v[40:41], -v[32:33]
	v_add_f64 v[34:35], v[16:17], v[30:31]
	v_add_f64 v[16:17], v[16:17], -v[30:31]
	v_add_f64 v[30:31], v[6:7], v[20:21]
	v_mad_u64_u32 v[26:27], s[0:1], s10, v52, 0
	v_add_f64 v[36:37], v[4:5], v[32:33]
	v_add_f64 v[4:5], v[4:5], -v[32:33]
	v_add_f64 v[32:33], v[8:9], v[22:23]
	v_add_f64 v[6:7], v[6:7], -v[20:21]
	;; [unrolled: 2-line block ×5, first 2 shown]
	v_add_f64 v[18:19], v[32:33], v[36:37]
	v_add_f64 v[14:15], v[20:21], v[14:15]
	s_mov_b32 s0, 0x37e14327
	v_add_f64 v[38:39], v[30:31], -v[34:35]
	v_add_f64 v[40:41], v[32:33], -v[36:37]
	;; [unrolled: 1-line block ×4, first 2 shown]
	v_add_f64 v[18:19], v[22:23], v[18:19]
	v_add_f64 v[0:1], v[0:1], v[14:15]
	s_mov_b32 s1, 0x3fe948f6
	s_mov_b32 s6, 0xaaaaaaaa
	v_add_f64 v[30:31], v[20:21], -v[30:31]
	v_add_f64 v[32:33], v[22:23], -v[32:33]
	v_add_f64 v[2:3], v[2:3], v[18:19]
	v_mul_f64 v[20:21], v[34:35], s[0:1]
	v_mul_f64 v[22:23], v[36:37], s[0:1]
	s_mov_b32 s0, 0x36b3c0b5
	s_mov_b32 s7, 0xbff2aaaa
	v_mov_b64_e32 v[50:51], v[0:1]
	s_mov_b32 s1, 0x3fac98ee
	s_mov_b32 s2, 0xe976ee23
	v_fmac_f64_e32 v[50:51], s[6:7], v[14:15]
	v_mov_b64_e32 v[14:15], v[2:3]
	v_add_f64 v[42:43], v[10:11], v[6:7]
	v_add_f64 v[44:45], v[12:13], v[8:9]
	v_add_f64 v[46:47], v[10:11], -v[6:7]
	v_add_f64 v[48:49], v[12:13], -v[8:9]
	v_mul_f64 v[34:35], v[30:31], s[0:1]
	v_mul_f64 v[36:37], v[32:33], s[0:1]
	s_mov_b32 s3, 0x3fe11646
	v_fmac_f64_e32 v[14:15], s[6:7], v[18:19]
	s_mov_b32 s7, 0x3fe77f67
	s_mov_b32 s6, 0x5476071b
	v_add_f64 v[10:11], v[16:17], -v[10:11]
	v_add_f64 v[12:13], v[4:5], -v[12:13]
	;; [unrolled: 1-line block ×4, first 2 shown]
	v_add_f64 v[16:17], v[42:43], v[16:17]
	v_add_f64 v[4:5], v[44:45], v[4:5]
	v_mul_f64 v[42:43], v[46:47], s[2:3]
	v_mul_f64 v[44:45], v[48:49], s[2:3]
	s_mov_b32 s2, 0x429ad128
	v_fma_f64 v[18:19], s[0:1], v[30:31], v[20:21]
	v_fma_f64 v[30:31], v[38:39], s[6:7], -v[34:35]
	v_fma_f64 v[34:35], v[40:41], s[6:7], -v[36:37]
	s_mov_b32 s7, 0xbfe77f67
	s_mov_b32 s3, 0xbfebfeb5
	v_fma_f64 v[36:37], v[40:41], s[6:7], -v[22:23]
	v_fmac_f64_e32 v[22:23], s[0:1], v[32:33]
	s_mov_b32 s1, 0xbfd5d0dc
	s_mov_b32 s0, 0xb247c609
	v_mul_f64 v[46:47], v[6:7], s[2:3]
	v_mul_f64 v[48:49], v[8:9], s[2:3]
	v_fma_f64 v[20:21], v[38:39], s[6:7], -v[20:21]
	v_fma_f64 v[40:41], s[0:1], v[10:11], v[42:43]
	v_fma_f64 v[38:39], v[8:9], s[2:3], -v[44:45]
	v_fmac_f64_e32 v[44:45], s[0:1], v[12:13]
	s_mov_b32 s1, 0x3fd5d0dc
	v_fma_f64 v[32:33], v[6:7], s[2:3], -v[42:43]
	v_fma_f64 v[42:43], v[10:11], s[0:1], -v[46:47]
	;; [unrolled: 1-line block ×3, first 2 shown]
	s_mov_b32 s0, 0x37c3f68c
	s_mov_b32 s1, 0xbfdc38aa
	v_add_f64 v[18:19], v[18:19], v[50:51]
	v_add_f64 v[22:23], v[22:23], v[14:15]
	;; [unrolled: 1-line block ×6, first 2 shown]
	v_fmac_f64_e32 v[40:41], s[0:1], v[16:17]
	v_fmac_f64_e32 v[44:45], s[0:1], v[4:5]
	;; [unrolled: 1-line block ×6, first 2 shown]
	v_add_f64 v[4:5], v[44:45], v[18:19]
	v_add_f64 v[6:7], v[22:23], -v[40:41]
	v_add_f64 v[8:9], v[46:47], v[20:21]
	v_add_f64 v[10:11], v[36:37], -v[42:43]
	v_add_f64 v[12:13], v[30:31], -v[38:39]
	v_add_f64 v[14:15], v[32:33], v[34:35]
	v_add_f64 v[30:31], v[38:39], v[30:31]
	v_add_f64 v[32:33], v[34:35], -v[32:33]
	v_add_f64 v[34:35], v[20:21], -v[46:47]
	v_add_f64 v[36:37], v[42:43], v[36:37]
	v_add_f64 v[38:39], v[18:19], -v[44:45]
	v_add_f64 v[40:41], v[40:41], v[22:23]
	ds_write_b128 v144, v[0:3]
	ds_write_b128 v144, v[4:7] offset:2816
	ds_write_b128 v144, v[8:11] offset:5632
	;; [unrolled: 1-line block ×6, first 2 shown]
	s_waitcnt lgkmcnt(0)
	s_barrier
	ds_read_b128 v[0:3], v144
	v_mov_b32_e32 v28, v27
	v_accvgpr_read_b32 v13, a9
	v_mad_u64_u32 v[4:5], s[0:1], s11, v52, v[28:29]
	v_accvgpr_read_b32 v12, a8
	v_mov_b32_e32 v27, v4
	ds_read_b128 v[4:7], v144 offset:2816
	v_accvgpr_read_b32 v11, a7
	v_accvgpr_read_b32 v10, a6
	s_waitcnt lgkmcnt(1)
	v_mul_f64 v[8:9], v[12:13], v[2:3]
	v_fmac_f64_e32 v[8:9], v[10:11], v[0:1]
	s_mov_b32 s0, 0x606a63be
	v_mul_f64 v[0:1], v[12:13], v[0:1]
	s_mov_b32 s1, 0x3f4a98ef
	v_fma_f64 v[0:1], v[10:11], v[2:3], -v[0:1]
	v_mad_u64_u32 v[12:13], s[2:3], s8, v146, 0
	v_mul_f64 v[10:11], v[0:1], s[0:1]
	v_mov_b32_e32 v0, v13
	v_mad_u64_u32 v[0:1], s[2:3], s9, v146, v[0:1]
	v_mov_b32_e32 v13, v0
	ds_read_b128 v[0:3], v144 offset:9856
	v_mov_b32_e32 v24, s12
	v_mov_b32_e32 v25, s13
	v_lshl_add_u64 v[14:15], v[26:27], 4, v[24:25]
	v_accvgpr_read_b32 v21, a5
	v_mul_f64 v[8:9], v[8:9], s[0:1]
	v_lshl_add_u64 v[16:17], v[12:13], 4, v[14:15]
	v_accvgpr_read_b32 v20, a4
	global_store_dwordx4 v[16:17], v[8:11], off
	ds_read_b128 v[8:11], v144 offset:5632
	v_accvgpr_read_b32 v19, a3
	v_accvgpr_read_b32 v18, a2
	s_waitcnt lgkmcnt(1)
	v_mul_f64 v[12:13], v[20:21], v[2:3]
	s_mul_i32 s2, s9, 0x268
	s_mul_hi_u32 s3, s8, 0x268
	v_fmac_f64_e32 v[12:13], v[18:19], v[0:1]
	v_mul_f64 v[0:1], v[20:21], v[0:1]
	s_add_i32 s3, s3, s2
	s_mul_i32 s2, s8, 0x268
	v_fma_f64 v[0:1], v[18:19], v[2:3], -v[0:1]
	s_lshl_b64 s[10:11], s[2:3], 4
	v_mul_f64 v[12:13], v[12:13], s[0:1]
	v_mul_f64 v[14:15], v[0:1], s[0:1]
	v_lshl_add_u64 v[16:17], v[16:17], 0, s[10:11]
	global_store_dwordx4 v[16:17], v[12:15], off
	s_mul_hi_u32 s7, s8, 0xfffffe48
	s_mul_i32 s6, s9, 0xfffffe48
	v_accvgpr_read_b32 v15, a13
	v_accvgpr_read_b32 v14, a12
	;; [unrolled: 1-line block ×4, first 2 shown]
	v_mul_f64 v[0:1], v[14:15], v[6:7]
	v_mul_f64 v[2:3], v[14:15], v[4:5]
	v_fmac_f64_e32 v[0:1], v[12:13], v[4:5]
	v_fma_f64 v[2:3], v[12:13], v[6:7], -v[2:3]
	ds_read_b128 v[4:7], v144 offset:12672
	s_sub_i32 s7, s7, s8
	s_add_i32 s7, s7, s6
	s_mul_i32 s6, s8, 0xfffffe48
	s_lshl_b64 s[8:9], s[6:7], 4
	v_accvgpr_read_b32 v21, a17
	v_mul_f64 v[0:1], v[0:1], s[0:1]
	v_mul_f64 v[2:3], v[2:3], s[0:1]
	v_lshl_add_u64 v[16:17], v[16:17], 0, s[8:9]
	v_accvgpr_read_b32 v20, a16
	global_store_dwordx4 v[16:17], v[0:3], off
	ds_read_b128 v[0:3], v144 offset:15488
	v_accvgpr_read_b32 v19, a15
	v_accvgpr_read_b32 v18, a14
	s_waitcnt lgkmcnt(1)
	v_mul_f64 v[12:13], v[20:21], v[6:7]
	v_fmac_f64_e32 v[12:13], v[18:19], v[4:5]
	v_mul_f64 v[4:5], v[20:21], v[4:5]
	v_fma_f64 v[4:5], v[18:19], v[6:7], -v[4:5]
	v_mul_f64 v[12:13], v[12:13], s[0:1]
	v_mul_f64 v[14:15], v[4:5], s[0:1]
	v_lshl_add_u64 v[16:17], v[16:17], 0, s[10:11]
	global_store_dwordx4 v[16:17], v[12:15], off
	s_nop 1
	v_accvgpr_read_b32 v12, a20
	v_accvgpr_read_b32 v14, a22
	;; [unrolled: 1-line block ×4, first 2 shown]
	v_mul_f64 v[4:5], v[14:15], v[10:11]
	v_mul_f64 v[6:7], v[14:15], v[8:9]
	v_fmac_f64_e32 v[4:5], v[12:13], v[8:9]
	v_fma_f64 v[6:7], v[12:13], v[10:11], -v[6:7]
	v_accvgpr_read_b32 v10, a24
	v_mul_f64 v[4:5], v[4:5], s[0:1]
	v_mul_f64 v[6:7], v[6:7], s[0:1]
	v_lshl_add_u64 v[8:9], v[16:17], 0, s[8:9]
	v_accvgpr_read_b32 v12, a26
	v_accvgpr_read_b32 v13, a27
	global_store_dwordx4 v[8:9], v[4:7], off
	v_accvgpr_read_b32 v11, a25
	s_waitcnt lgkmcnt(0)
	v_mul_f64 v[4:5], v[12:13], v[2:3]
	v_fmac_f64_e32 v[4:5], v[10:11], v[0:1]
	v_mul_f64 v[0:1], v[12:13], v[0:1]
	v_fma_f64 v[0:1], v[10:11], v[2:3], -v[0:1]
	v_mul_f64 v[4:5], v[4:5], s[0:1]
	v_mul_f64 v[6:7], v[0:1], s[0:1]
	v_lshl_add_u64 v[0:1], v[8:9], 0, s[10:11]
	global_store_dwordx4 v[0:1], v[4:7], off
	s_and_b64 exec, exec, s[4:5]
	s_cbranch_execz .LBB0_47
; %bb.46:
	v_accvgpr_read_b32 v7, a1
	v_accvgpr_read_b32 v6, a0
	v_add_co_u32_e32 v2, vcc, 0x2000, v6
	s_movk_i32 s4, 0x4000
	s_nop 0
	v_addc_co_u32_e32 v3, vcc, 0, v7, vcc
	v_add_co_u32_e32 v6, vcc, s4, v6
	global_load_dwordx4 v[2:5], v[2:3], off offset:256
	s_nop 0
	v_addc_co_u32_e32 v7, vcc, 0, v7, vcc
	global_load_dwordx4 v[6:9], v[6:7], off offset:1920
	ds_read_b128 v[10:13], v144 offset:8448
	ds_read_b128 v[14:17], v144 offset:18304
	v_lshl_add_u64 v[18:19], s[6:7], 4, v[0:1]
	v_lshl_add_u64 v[20:21], s[2:3], 4, v[18:19]
	s_waitcnt vmcnt(1) lgkmcnt(1)
	v_mul_f64 v[0:1], v[12:13], v[4:5]
	v_mul_f64 v[4:5], v[10:11], v[4:5]
	v_fmac_f64_e32 v[0:1], v[10:11], v[2:3]
	s_waitcnt vmcnt(0) lgkmcnt(0)
	v_mul_f64 v[22:23], v[16:17], v[8:9]
	v_mul_f64 v[8:9], v[14:15], v[8:9]
	v_fma_f64 v[2:3], v[2:3], v[12:13], -v[4:5]
	v_fmac_f64_e32 v[22:23], v[14:15], v[6:7]
	v_fma_f64 v[6:7], v[6:7], v[16:17], -v[8:9]
	v_mul_f64 v[0:1], v[0:1], s[0:1]
	v_mul_f64 v[2:3], v[2:3], s[0:1]
	;; [unrolled: 1-line block ×4, first 2 shown]
	global_store_dwordx4 v[18:19], v[0:3], off
	global_store_dwordx4 v[20:21], v[4:7], off
.LBB0_47:
	s_endpgm
	.section	.rodata,"a",@progbits
	.p2align	6, 0x0
	.amdhsa_kernel bluestein_single_fwd_len1232_dim1_dp_op_CI_CI
		.amdhsa_group_segment_fixed_size 19712
		.amdhsa_private_segment_fixed_size 0
		.amdhsa_kernarg_size 104
		.amdhsa_user_sgpr_count 2
		.amdhsa_user_sgpr_dispatch_ptr 0
		.amdhsa_user_sgpr_queue_ptr 0
		.amdhsa_user_sgpr_kernarg_segment_ptr 1
		.amdhsa_user_sgpr_dispatch_id 0
		.amdhsa_user_sgpr_kernarg_preload_length 0
		.amdhsa_user_sgpr_kernarg_preload_offset 0
		.amdhsa_user_sgpr_private_segment_size 0
		.amdhsa_uses_dynamic_stack 0
		.amdhsa_enable_private_segment 0
		.amdhsa_system_sgpr_workgroup_id_x 1
		.amdhsa_system_sgpr_workgroup_id_y 0
		.amdhsa_system_sgpr_workgroup_id_z 0
		.amdhsa_system_sgpr_workgroup_info 0
		.amdhsa_system_vgpr_workitem_id 0
		.amdhsa_next_free_vgpr 348
		.amdhsa_next_free_sgpr 46
		.amdhsa_accum_offset 256
		.amdhsa_reserve_vcc 1
		.amdhsa_float_round_mode_32 0
		.amdhsa_float_round_mode_16_64 0
		.amdhsa_float_denorm_mode_32 3
		.amdhsa_float_denorm_mode_16_64 3
		.amdhsa_dx10_clamp 1
		.amdhsa_ieee_mode 1
		.amdhsa_fp16_overflow 0
		.amdhsa_tg_split 0
		.amdhsa_exception_fp_ieee_invalid_op 0
		.amdhsa_exception_fp_denorm_src 0
		.amdhsa_exception_fp_ieee_div_zero 0
		.amdhsa_exception_fp_ieee_overflow 0
		.amdhsa_exception_fp_ieee_underflow 0
		.amdhsa_exception_fp_ieee_inexact 0
		.amdhsa_exception_int_div_zero 0
	.end_amdhsa_kernel
	.text
.Lfunc_end0:
	.size	bluestein_single_fwd_len1232_dim1_dp_op_CI_CI, .Lfunc_end0-bluestein_single_fwd_len1232_dim1_dp_op_CI_CI
                                        ; -- End function
	.section	.AMDGPU.csdata,"",@progbits
; Kernel info:
; codeLenInByte = 15808
; NumSgprs: 52
; NumVgprs: 256
; NumAgprs: 92
; TotalNumVgprs: 348
; ScratchSize: 0
; MemoryBound: 0
; FloatMode: 240
; IeeeMode: 1
; LDSByteSize: 19712 bytes/workgroup (compile time only)
; SGPRBlocks: 6
; VGPRBlocks: 43
; NumSGPRsForWavesPerEU: 52
; NumVGPRsForWavesPerEU: 348
; AccumOffset: 256
; Occupancy: 1
; WaveLimiterHint : 1
; COMPUTE_PGM_RSRC2:SCRATCH_EN: 0
; COMPUTE_PGM_RSRC2:USER_SGPR: 2
; COMPUTE_PGM_RSRC2:TRAP_HANDLER: 0
; COMPUTE_PGM_RSRC2:TGID_X_EN: 1
; COMPUTE_PGM_RSRC2:TGID_Y_EN: 0
; COMPUTE_PGM_RSRC2:TGID_Z_EN: 0
; COMPUTE_PGM_RSRC2:TIDIG_COMP_CNT: 0
; COMPUTE_PGM_RSRC3_GFX90A:ACCUM_OFFSET: 63
; COMPUTE_PGM_RSRC3_GFX90A:TG_SPLIT: 0
	.text
	.p2alignl 6, 3212836864
	.fill 256, 4, 3212836864
	.type	__hip_cuid_662661142caaab6e,@object ; @__hip_cuid_662661142caaab6e
	.section	.bss,"aw",@nobits
	.globl	__hip_cuid_662661142caaab6e
__hip_cuid_662661142caaab6e:
	.byte	0                               ; 0x0
	.size	__hip_cuid_662661142caaab6e, 1

	.ident	"AMD clang version 19.0.0git (https://github.com/RadeonOpenCompute/llvm-project roc-6.4.0 25133 c7fe45cf4b819c5991fe208aaa96edf142730f1d)"
	.section	".note.GNU-stack","",@progbits
	.addrsig
	.addrsig_sym __hip_cuid_662661142caaab6e
	.amdgpu_metadata
---
amdhsa.kernels:
  - .agpr_count:     92
    .args:
      - .actual_access:  read_only
        .address_space:  global
        .offset:         0
        .size:           8
        .value_kind:     global_buffer
      - .actual_access:  read_only
        .address_space:  global
        .offset:         8
        .size:           8
        .value_kind:     global_buffer
      - .actual_access:  read_only
        .address_space:  global
        .offset:         16
        .size:           8
        .value_kind:     global_buffer
      - .actual_access:  read_only
        .address_space:  global
        .offset:         24
        .size:           8
        .value_kind:     global_buffer
      - .actual_access:  read_only
        .address_space:  global
        .offset:         32
        .size:           8
        .value_kind:     global_buffer
      - .offset:         40
        .size:           8
        .value_kind:     by_value
      - .address_space:  global
        .offset:         48
        .size:           8
        .value_kind:     global_buffer
      - .address_space:  global
        .offset:         56
        .size:           8
        .value_kind:     global_buffer
      - .address_space:  global
        .offset:         64
        .size:           8
        .value_kind:     global_buffer
      - .address_space:  global
        .offset:         72
        .size:           8
        .value_kind:     global_buffer
      - .offset:         80
        .size:           4
        .value_kind:     by_value
      - .address_space:  global
        .offset:         88
        .size:           8
        .value_kind:     global_buffer
      - .address_space:  global
        .offset:         96
        .size:           8
        .value_kind:     global_buffer
    .group_segment_fixed_size: 19712
    .kernarg_segment_align: 8
    .kernarg_segment_size: 104
    .language:       OpenCL C
    .language_version:
      - 2
      - 0
    .max_flat_workgroup_size: 176
    .name:           bluestein_single_fwd_len1232_dim1_dp_op_CI_CI
    .private_segment_fixed_size: 0
    .sgpr_count:     52
    .sgpr_spill_count: 0
    .symbol:         bluestein_single_fwd_len1232_dim1_dp_op_CI_CI.kd
    .uniform_work_group_size: 1
    .uses_dynamic_stack: false
    .vgpr_count:     348
    .vgpr_spill_count: 0
    .wavefront_size: 64
amdhsa.target:   amdgcn-amd-amdhsa--gfx950
amdhsa.version:
  - 1
  - 2
...

	.end_amdgpu_metadata
